;; amdgpu-corpus repo=ROCm/rocFFT kind=compiled arch=gfx906 opt=O3
	.text
	.amdgcn_target "amdgcn-amd-amdhsa--gfx906"
	.amdhsa_code_object_version 6
	.protected	fft_rtc_fwd_len1176_factors_2_2_2_3_7_7_wgs_56_tpt_56_halfLds_dp_op_CI_CI_sbrr_dirReg ; -- Begin function fft_rtc_fwd_len1176_factors_2_2_2_3_7_7_wgs_56_tpt_56_halfLds_dp_op_CI_CI_sbrr_dirReg
	.globl	fft_rtc_fwd_len1176_factors_2_2_2_3_7_7_wgs_56_tpt_56_halfLds_dp_op_CI_CI_sbrr_dirReg
	.p2align	8
	.type	fft_rtc_fwd_len1176_factors_2_2_2_3_7_7_wgs_56_tpt_56_halfLds_dp_op_CI_CI_sbrr_dirReg,@function
fft_rtc_fwd_len1176_factors_2_2_2_3_7_7_wgs_56_tpt_56_halfLds_dp_op_CI_CI_sbrr_dirReg: ; @fft_rtc_fwd_len1176_factors_2_2_2_3_7_7_wgs_56_tpt_56_halfLds_dp_op_CI_CI_sbrr_dirReg
; %bb.0:
	s_load_dwordx4 s[16:19], s[4:5], 0x18
	s_load_dwordx4 s[12:15], s[4:5], 0x0
	;; [unrolled: 1-line block ×3, first 2 shown]
	v_mul_u32_u24_e32 v1, 0x493, v0
	v_add_u32_sdwa v6, s6, v1 dst_sel:DWORD dst_unused:UNUSED_PAD src0_sel:DWORD src1_sel:WORD_1
	s_waitcnt lgkmcnt(0)
	s_load_dwordx2 s[20:21], s[16:17], 0x0
	s_load_dwordx2 s[2:3], s[18:19], 0x0
	v_cmp_lt_u64_e64 s[0:1], s[14:15], 2
	v_mov_b32_e32 v1, 0
	v_mov_b32_e32 v4, 0
	;; [unrolled: 1-line block ×3, first 2 shown]
	s_and_b64 vcc, exec, s[0:1]
	v_mov_b32_e32 v5, 0
	s_cbranch_vccnz .LBB0_8
; %bb.1:
	s_load_dwordx2 s[0:1], s[4:5], 0x10
	s_add_u32 s6, s18, 8
	s_addc_u32 s7, s19, 0
	s_add_u32 s22, s16, 8
	v_mov_b32_e32 v4, 0
	s_addc_u32 s23, s17, 0
	v_mov_b32_e32 v5, 0
	s_waitcnt lgkmcnt(0)
	s_add_u32 s24, s0, 8
	v_mov_b32_e32 v111, v5
	s_addc_u32 s25, s1, 0
	s_mov_b64 s[26:27], 1
	v_mov_b32_e32 v110, v4
.LBB0_2:                                ; =>This Inner Loop Header: Depth=1
	s_load_dwordx2 s[28:29], s[24:25], 0x0
                                        ; implicit-def: $vgpr112_vgpr113
	s_waitcnt lgkmcnt(0)
	v_or_b32_e32 v2, s29, v7
	v_cmp_ne_u64_e32 vcc, 0, v[1:2]
	s_and_saveexec_b64 s[0:1], vcc
	s_xor_b64 s[30:31], exec, s[0:1]
	s_cbranch_execz .LBB0_4
; %bb.3:                                ;   in Loop: Header=BB0_2 Depth=1
	v_cvt_f32_u32_e32 v2, s28
	v_cvt_f32_u32_e32 v3, s29
	s_sub_u32 s0, 0, s28
	s_subb_u32 s1, 0, s29
	v_mac_f32_e32 v2, 0x4f800000, v3
	v_rcp_f32_e32 v2, v2
	v_mul_f32_e32 v2, 0x5f7ffffc, v2
	v_mul_f32_e32 v3, 0x2f800000, v2
	v_trunc_f32_e32 v3, v3
	v_mac_f32_e32 v2, 0xcf800000, v3
	v_cvt_u32_f32_e32 v3, v3
	v_cvt_u32_f32_e32 v2, v2
	v_mul_lo_u32 v8, s0, v3
	v_mul_hi_u32 v9, s0, v2
	v_mul_lo_u32 v11, s1, v2
	v_mul_lo_u32 v10, s0, v2
	v_add_u32_e32 v8, v9, v8
	v_add_u32_e32 v8, v8, v11
	v_mul_hi_u32 v9, v2, v10
	v_mul_lo_u32 v11, v2, v8
	v_mul_hi_u32 v13, v2, v8
	v_mul_hi_u32 v12, v3, v10
	v_mul_lo_u32 v10, v3, v10
	v_mul_hi_u32 v14, v3, v8
	v_add_co_u32_e32 v9, vcc, v9, v11
	v_addc_co_u32_e32 v11, vcc, 0, v13, vcc
	v_mul_lo_u32 v8, v3, v8
	v_add_co_u32_e32 v9, vcc, v9, v10
	v_addc_co_u32_e32 v9, vcc, v11, v12, vcc
	v_addc_co_u32_e32 v10, vcc, 0, v14, vcc
	v_add_co_u32_e32 v8, vcc, v9, v8
	v_addc_co_u32_e32 v9, vcc, 0, v10, vcc
	v_add_co_u32_e32 v2, vcc, v2, v8
	v_addc_co_u32_e32 v3, vcc, v3, v9, vcc
	v_mul_lo_u32 v8, s0, v3
	v_mul_hi_u32 v9, s0, v2
	v_mul_lo_u32 v10, s1, v2
	v_mul_lo_u32 v11, s0, v2
	v_add_u32_e32 v8, v9, v8
	v_add_u32_e32 v8, v8, v10
	v_mul_lo_u32 v12, v2, v8
	v_mul_hi_u32 v13, v2, v11
	v_mul_hi_u32 v14, v2, v8
	;; [unrolled: 1-line block ×3, first 2 shown]
	v_mul_lo_u32 v11, v3, v11
	v_mul_hi_u32 v9, v3, v8
	v_add_co_u32_e32 v12, vcc, v13, v12
	v_addc_co_u32_e32 v13, vcc, 0, v14, vcc
	v_mul_lo_u32 v8, v3, v8
	v_add_co_u32_e32 v11, vcc, v12, v11
	v_addc_co_u32_e32 v10, vcc, v13, v10, vcc
	v_addc_co_u32_e32 v9, vcc, 0, v9, vcc
	v_add_co_u32_e32 v8, vcc, v10, v8
	v_addc_co_u32_e32 v9, vcc, 0, v9, vcc
	v_add_co_u32_e32 v8, vcc, v2, v8
	v_addc_co_u32_e32 v9, vcc, v3, v9, vcc
	v_mad_u64_u32 v[2:3], s[0:1], v6, v9, 0
	v_mul_hi_u32 v10, v6, v8
	v_add_co_u32_e32 v10, vcc, v10, v2
	v_addc_co_u32_e32 v11, vcc, 0, v3, vcc
	v_mad_u64_u32 v[2:3], s[0:1], v7, v8, 0
	v_mad_u64_u32 v[8:9], s[0:1], v7, v9, 0
	v_add_co_u32_e32 v2, vcc, v10, v2
	v_addc_co_u32_e32 v2, vcc, v11, v3, vcc
	v_addc_co_u32_e32 v3, vcc, 0, v9, vcc
	v_add_co_u32_e32 v8, vcc, v2, v8
	v_addc_co_u32_e32 v9, vcc, 0, v3, vcc
	v_mul_lo_u32 v10, s29, v8
	v_mul_lo_u32 v11, s28, v9
	v_mad_u64_u32 v[2:3], s[0:1], s28, v8, 0
	v_add3_u32 v3, v3, v11, v10
	v_sub_u32_e32 v10, v7, v3
	v_mov_b32_e32 v11, s29
	v_sub_co_u32_e32 v2, vcc, v6, v2
	v_subb_co_u32_e64 v10, s[0:1], v10, v11, vcc
	v_subrev_co_u32_e64 v11, s[0:1], s28, v2
	v_subbrev_co_u32_e64 v10, s[0:1], 0, v10, s[0:1]
	v_cmp_le_u32_e64 s[0:1], s29, v10
	v_cndmask_b32_e64 v12, 0, -1, s[0:1]
	v_cmp_le_u32_e64 s[0:1], s28, v11
	v_cndmask_b32_e64 v11, 0, -1, s[0:1]
	v_cmp_eq_u32_e64 s[0:1], s29, v10
	v_cndmask_b32_e64 v10, v12, v11, s[0:1]
	v_add_co_u32_e64 v11, s[0:1], 2, v8
	v_addc_co_u32_e64 v12, s[0:1], 0, v9, s[0:1]
	v_add_co_u32_e64 v13, s[0:1], 1, v8
	v_addc_co_u32_e64 v14, s[0:1], 0, v9, s[0:1]
	v_subb_co_u32_e32 v3, vcc, v7, v3, vcc
	v_cmp_ne_u32_e64 s[0:1], 0, v10
	v_cmp_le_u32_e32 vcc, s29, v3
	v_cndmask_b32_e64 v10, v14, v12, s[0:1]
	v_cndmask_b32_e64 v12, 0, -1, vcc
	v_cmp_le_u32_e32 vcc, s28, v2
	v_cndmask_b32_e64 v2, 0, -1, vcc
	v_cmp_eq_u32_e32 vcc, s29, v3
	v_cndmask_b32_e32 v2, v12, v2, vcc
	v_cmp_ne_u32_e32 vcc, 0, v2
	v_cndmask_b32_e64 v2, v13, v11, s[0:1]
	v_cndmask_b32_e32 v113, v9, v10, vcc
	v_cndmask_b32_e32 v112, v8, v2, vcc
.LBB0_4:                                ;   in Loop: Header=BB0_2 Depth=1
	s_andn2_saveexec_b64 s[0:1], s[30:31]
	s_cbranch_execz .LBB0_6
; %bb.5:                                ;   in Loop: Header=BB0_2 Depth=1
	v_cvt_f32_u32_e32 v2, s28
	s_sub_i32 s30, 0, s28
	v_mov_b32_e32 v113, v1
	v_rcp_iflag_f32_e32 v2, v2
	v_mul_f32_e32 v2, 0x4f7ffffe, v2
	v_cvt_u32_f32_e32 v2, v2
	v_mul_lo_u32 v3, s30, v2
	v_mul_hi_u32 v3, v2, v3
	v_add_u32_e32 v2, v2, v3
	v_mul_hi_u32 v2, v6, v2
	v_mul_lo_u32 v3, v2, s28
	v_add_u32_e32 v8, 1, v2
	v_sub_u32_e32 v3, v6, v3
	v_subrev_u32_e32 v9, s28, v3
	v_cmp_le_u32_e32 vcc, s28, v3
	v_cndmask_b32_e32 v3, v3, v9, vcc
	v_cndmask_b32_e32 v2, v2, v8, vcc
	v_add_u32_e32 v8, 1, v2
	v_cmp_le_u32_e32 vcc, s28, v3
	v_cndmask_b32_e32 v112, v2, v8, vcc
.LBB0_6:                                ;   in Loop: Header=BB0_2 Depth=1
	s_or_b64 exec, exec, s[0:1]
	v_mul_lo_u32 v8, v113, s28
	v_mul_lo_u32 v9, v112, s29
	v_mad_u64_u32 v[2:3], s[0:1], v112, s28, 0
	s_load_dwordx2 s[0:1], s[22:23], 0x0
	s_load_dwordx2 s[28:29], s[6:7], 0x0
	v_add3_u32 v3, v3, v9, v8
	v_sub_co_u32_e32 v2, vcc, v6, v2
	v_subb_co_u32_e32 v3, vcc, v7, v3, vcc
	s_waitcnt lgkmcnt(0)
	v_mul_lo_u32 v6, s0, v3
	v_mul_lo_u32 v7, s1, v2
	v_mad_u64_u32 v[4:5], s[0:1], s0, v2, v[4:5]
	v_mul_lo_u32 v3, s28, v3
	v_mul_lo_u32 v8, s29, v2
	v_mad_u64_u32 v[110:111], s[0:1], s28, v2, v[110:111]
	s_add_u32 s26, s26, 1
	s_addc_u32 s27, s27, 0
	s_add_u32 s6, s6, 8
	v_add3_u32 v111, v8, v111, v3
	s_addc_u32 s7, s7, 0
	v_mov_b32_e32 v2, s14
	s_add_u32 s22, s22, 8
	v_mov_b32_e32 v3, s15
	s_addc_u32 s23, s23, 0
	v_cmp_ge_u64_e32 vcc, s[26:27], v[2:3]
	s_add_u32 s24, s24, 8
	v_add3_u32 v5, v7, v5, v6
	s_addc_u32 s25, s25, 0
	s_cbranch_vccnz .LBB0_9
; %bb.7:                                ;   in Loop: Header=BB0_2 Depth=1
	v_mov_b32_e32 v6, v112
	v_mov_b32_e32 v7, v113
	s_branch .LBB0_2
.LBB0_8:
	v_mov_b32_e32 v111, v5
	v_mov_b32_e32 v113, v7
	;; [unrolled: 1-line block ×4, first 2 shown]
.LBB0_9:
	s_load_dwordx2 s[0:1], s[4:5], 0x28
	s_lshl_b64 s[14:15], s[14:15], 3
	s_add_u32 s4, s18, s14
	s_addc_u32 s5, s19, s15
                                        ; implicit-def: $vgpr120
                                        ; implicit-def: $vgpr121
                                        ; implicit-def: $vgpr122
                                        ; implicit-def: $vgpr129
                                        ; implicit-def: $vgpr130
                                        ; implicit-def: $vgpr131
                                        ; implicit-def: $vgpr132
                                        ; implicit-def: $vgpr114
                                        ; implicit-def: $vgpr115
                                        ; implicit-def: $vgpr116
	s_waitcnt lgkmcnt(0)
	v_cmp_gt_u64_e32 vcc, s[0:1], v[112:113]
	v_cmp_le_u64_e64 s[0:1], s[0:1], v[112:113]
	s_and_saveexec_b64 s[6:7], s[0:1]
	s_xor_b64 s[0:1], exec, s[6:7]
	s_cbranch_execz .LBB0_11
; %bb.10:
	s_mov_b32 s6, 0x4924925
	v_mul_hi_u32 v1, v0, s6
                                        ; implicit-def: $vgpr4_vgpr5
	v_mul_u32_u24_e32 v1, 56, v1
	v_sub_u32_e32 v120, v0, v1
	v_add_u32_e32 v121, 56, v120
	v_add_u32_e32 v122, 0x70, v120
	;; [unrolled: 1-line block ×7, first 2 shown]
	v_or_b32_e32 v115, 0x1c0, v120
	v_add_u32_e32 v116, 0x1f8, v120
                                        ; implicit-def: $vgpr0
.LBB0_11:
	s_or_saveexec_b64 s[6:7], s[0:1]
	s_load_dwordx2 s[4:5], s[4:5], 0x0
                                        ; implicit-def: $vgpr88_vgpr89
                                        ; implicit-def: $vgpr72_vgpr73
                                        ; implicit-def: $vgpr34_vgpr35
                                        ; implicit-def: $vgpr26_vgpr27
                                        ; implicit-def: $vgpr42_vgpr43
                                        ; implicit-def: $vgpr2_vgpr3
                                        ; implicit-def: $vgpr30_vgpr31
                                        ; implicit-def: $vgpr6_vgpr7
                                        ; implicit-def: $vgpr38_vgpr39
                                        ; implicit-def: $vgpr10_vgpr11
                                        ; implicit-def: $vgpr46_vgpr47
                                        ; implicit-def: $vgpr14_vgpr15
                                        ; implicit-def: $vgpr56_vgpr57
                                        ; implicit-def: $vgpr18_vgpr19
                                        ; implicit-def: $vgpr60_vgpr61
                                        ; implicit-def: $vgpr22_vgpr23
                                        ; implicit-def: $vgpr80_vgpr81
                                        ; implicit-def: $vgpr64_vgpr65
                                        ; implicit-def: $vgpr84_vgpr85
                                        ; implicit-def: $vgpr68_vgpr69
                                        ; implicit-def: $vgpr76_vgpr77
                                        ; implicit-def: $vgpr52_vgpr53
	s_xor_b64 exec, exec, s[6:7]
	s_cbranch_execz .LBB0_15
; %bb.12:
	s_add_u32 s0, s16, s14
	s_mov_b32 s14, 0x4924925
	s_addc_u32 s1, s17, s15
	v_mul_hi_u32 v1, v0, s14
	s_load_dwordx2 s[0:1], s[0:1], 0x0
	v_mul_u32_u24_e32 v1, 56, v1
	v_sub_u32_e32 v120, v0, v1
	s_waitcnt lgkmcnt(0)
	v_mul_lo_u32 v8, s1, v112
	v_mad_u64_u32 v[0:1], s[14:15], s20, v120, 0
	v_mul_lo_u32 v9, s0, v113
	v_mad_u64_u32 v[2:3], s[0:1], s0, v112, 0
	v_add_u32_e32 v121, 56, v120
	v_add_u32_e32 v10, 0x284, v120
	v_mad_u64_u32 v[6:7], s[0:1], s21, v120, v[1:2]
	v_add3_u32 v3, v3, v9, v8
	v_lshlrev_b64 v[2:3], 4, v[2:3]
	v_mov_b32_e32 v1, v6
	v_mov_b32_e32 v6, s9
	v_add_co_u32_e64 v7, s[0:1], s8, v2
	v_add_u32_e32 v8, 0x24c, v120
	v_addc_co_u32_e64 v6, s[0:1], v6, v3, s[0:1]
	v_lshlrev_b64 v[2:3], 4, v[4:5]
	v_mad_u64_u32 v[4:5], s[0:1], s20, v8, 0
	v_add_co_u32_e64 v48, s[0:1], v7, v2
	v_mov_b32_e32 v2, v5
	v_addc_co_u32_e64 v49, s[0:1], v6, v3, s[0:1]
	v_mad_u64_u32 v[2:3], s[0:1], s21, v8, v[2:3]
	v_mad_u64_u32 v[6:7], s[0:1], s20, v121, 0
	v_lshlrev_b64 v[0:1], 4, v[0:1]
	v_mov_b32_e32 v5, v2
	v_add_co_u32_e64 v0, s[0:1], v48, v0
	v_lshlrev_b64 v[2:3], 4, v[4:5]
	v_mov_b32_e32 v4, v7
	v_addc_co_u32_e64 v1, s[0:1], v49, v1, s[0:1]
	v_mad_u64_u32 v[4:5], s[0:1], s21, v121, v[4:5]
	v_mad_u64_u32 v[8:9], s[0:1], s20, v10, 0
	v_mov_b32_e32 v7, v4
	v_add_co_u32_e64 v2, s[0:1], v48, v2
	v_lshlrev_b64 v[4:5], 4, v[6:7]
	v_mov_b32_e32 v6, v9
	v_add_u32_e32 v122, 0x70, v120
	v_addc_co_u32_e64 v3, s[0:1], v49, v3, s[0:1]
	v_mad_u64_u32 v[6:7], s[0:1], s21, v10, v[6:7]
	v_mad_u64_u32 v[10:11], s[0:1], s20, v122, 0
	v_add_co_u32_e64 v24, s[0:1], v48, v4
	v_mov_b32_e32 v9, v6
	v_mov_b32_e32 v6, v11
	v_addc_co_u32_e64 v25, s[0:1], v49, v5, s[0:1]
	v_lshlrev_b64 v[4:5], 4, v[8:9]
	v_mad_u64_u32 v[6:7], s[0:1], s21, v122, v[6:7]
	v_add_u32_e32 v9, 0x2bc, v120
	v_mad_u64_u32 v[7:8], s[0:1], s20, v9, 0
	v_add_co_u32_e64 v26, s[0:1], v48, v4
	v_mov_b32_e32 v11, v6
	v_mov_b32_e32 v6, v8
	v_addc_co_u32_e64 v27, s[0:1], v49, v5, s[0:1]
	v_mad_u64_u32 v[8:9], s[0:1], s21, v9, v[6:7]
	v_add_u32_e32 v129, 0xa8, v120
	v_lshlrev_b64 v[4:5], 4, v[10:11]
	v_mad_u64_u32 v[9:10], s[0:1], s20, v129, 0
	v_add_co_u32_e64 v32, s[0:1], v48, v4
	v_mov_b32_e32 v6, v10
	v_addc_co_u32_e64 v33, s[0:1], v49, v5, s[0:1]
	v_lshlrev_b64 v[4:5], 4, v[7:8]
	v_mad_u64_u32 v[6:7], s[0:1], s21, v129, v[6:7]
	v_add_u32_e32 v11, 0x2f4, v120
	v_mad_u64_u32 v[7:8], s[0:1], s20, v11, 0
	v_add_co_u32_e64 v34, s[0:1], v48, v4
	v_mov_b32_e32 v10, v6
	v_mov_b32_e32 v6, v8
	v_addc_co_u32_e64 v35, s[0:1], v49, v5, s[0:1]
	v_lshlrev_b64 v[4:5], 4, v[9:10]
	v_mad_u64_u32 v[8:9], s[0:1], s21, v11, v[6:7]
	v_add_u32_e32 v130, 0xe0, v120
	v_mad_u64_u32 v[9:10], s[0:1], s20, v130, 0
	v_add_co_u32_e64 v40, s[0:1], v48, v4
	v_mov_b32_e32 v6, v10
	v_addc_co_u32_e64 v41, s[0:1], v49, v5, s[0:1]
	v_lshlrev_b64 v[4:5], 4, v[7:8]
	v_mad_u64_u32 v[6:7], s[0:1], s21, v130, v[6:7]
	v_add_u32_e32 v11, 0x32c, v120
	v_mad_u64_u32 v[7:8], s[0:1], s20, v11, 0
	v_add_co_u32_e64 v42, s[0:1], v48, v4
	v_mov_b32_e32 v10, v6
	v_mov_b32_e32 v6, v8
	v_addc_co_u32_e64 v43, s[0:1], v49, v5, s[0:1]
	v_lshlrev_b64 v[4:5], 4, v[9:10]
	v_mad_u64_u32 v[8:9], s[0:1], s21, v11, v[6:7]
	v_add_u32_e32 v131, 0x118, v120
	;; [unrolled: 15-line block ×4, first 2 shown]
	v_mad_u64_u32 v[9:10], s[0:1], s20, v114, 0
	v_add_co_u32_e64 v90, s[0:1], v48, v4
	v_mov_b32_e32 v6, v10
	v_addc_co_u32_e64 v91, s[0:1], v49, v5, s[0:1]
	v_lshlrev_b64 v[4:5], 4, v[7:8]
	v_mad_u64_u32 v[6:7], s[0:1], s21, v114, v[6:7]
	v_add_u32_e32 v11, 0x3d4, v120
	v_mad_u64_u32 v[7:8], s[0:1], s20, v11, 0
	v_add_co_u32_e64 v92, s[0:1], v48, v4
	v_mov_b32_e32 v10, v6
	v_mov_b32_e32 v6, v8
	v_addc_co_u32_e64 v93, s[0:1], v49, v5, s[0:1]
	v_lshlrev_b64 v[4:5], 4, v[9:10]
	v_mad_u64_u32 v[8:9], s[0:1], s21, v11, v[6:7]
	v_or_b32_e32 v115, 0x1c0, v120
	v_mad_u64_u32 v[9:10], s[0:1], s20, v115, 0
	v_add_co_u32_e64 v94, s[0:1], v48, v4
	v_mov_b32_e32 v6, v10
	v_addc_co_u32_e64 v95, s[0:1], v49, v5, s[0:1]
	v_lshlrev_b64 v[4:5], 4, v[7:8]
	v_mad_u64_u32 v[6:7], s[0:1], s21, v115, v[6:7]
	v_add_u32_e32 v11, 0x40c, v120
	v_mad_u64_u32 v[7:8], s[0:1], s20, v11, 0
	v_add_co_u32_e64 v96, s[0:1], v48, v4
	v_mov_b32_e32 v10, v6
	v_mov_b32_e32 v6, v8
	v_addc_co_u32_e64 v97, s[0:1], v49, v5, s[0:1]
	v_lshlrev_b64 v[4:5], 4, v[9:10]
	v_mad_u64_u32 v[8:9], s[0:1], s21, v11, v[6:7]
	v_add_u32_e32 v116, 0x1f8, v120
	v_mad_u64_u32 v[9:10], s[0:1], s20, v116, 0
	v_add_co_u32_e64 v98, s[0:1], v48, v4
	v_mov_b32_e32 v6, v10
	v_addc_co_u32_e64 v99, s[0:1], v49, v5, s[0:1]
	v_lshlrev_b64 v[4:5], 4, v[7:8]
	v_mad_u64_u32 v[6:7], s[0:1], s21, v116, v[6:7]
	v_add_u32_e32 v11, 0x444, v120
	v_mad_u64_u32 v[7:8], s[0:1], s20, v11, 0
	v_add_co_u32_e64 v100, s[0:1], v48, v4
	v_mov_b32_e32 v10, v6
	v_mov_b32_e32 v6, v8
	v_addc_co_u32_e64 v101, s[0:1], v49, v5, s[0:1]
	v_lshlrev_b64 v[4:5], 4, v[9:10]
	v_mad_u64_u32 v[8:9], s[0:1], s21, v11, v[6:7]
	v_add_co_u32_e64 v102, s[0:1], v48, v4
	global_load_dwordx4 v[50:53], v[0:1], off
	global_load_dwordx4 v[74:77], v[2:3], off
	v_lshlrev_b64 v[0:1], 4, v[7:8]
	v_addc_co_u32_e64 v103, s[0:1], v49, v5, s[0:1]
	v_add_co_u32_e64 v104, s[0:1], v48, v0
	v_addc_co_u32_e64 v105, s[0:1], v49, v1, s[0:1]
	global_load_dwordx4 v[66:69], v[24:25], off
	global_load_dwordx4 v[82:85], v[26:27], off
	;; [unrolled: 1-line block ×15, first 2 shown]
                                        ; kill: killed $vgpr40 killed $vgpr41
                                        ; kill: killed $vgpr42 killed $vgpr43
                                        ; kill: killed $vgpr98 killed $vgpr99
                                        ; kill: killed $vgpr32 killed $vgpr33
                                        ; kill: killed $vgpr34 killed $vgpr35
                                        ; kill: killed $vgpr94 killed $vgpr95
                                        ; kill: killed $vgpr24 killed $vgpr25
                                        ; kill: killed $vgpr96 killed $vgpr97
                                        ; kill: killed $vgpr26 killed $vgpr27
                                        ; kill: killed $vgpr90 killed $vgpr91
                                        ; kill: killed $vgpr92 killed $vgpr93
                                        ; kill: killed $vgpr86 killed $vgpr87
                                        ; kill: killed $vgpr88 killed $vgpr89
                                        ; kill: killed $vgpr70 killed $vgpr71
                                        ; kill: killed $vgpr72 killed $vgpr73
	global_load_dwordx4 v[40:43], v[100:101], off
	global_load_dwordx4 v[24:27], v[102:103], off
	;; [unrolled: 1-line block ×3, first 2 shown]
	v_cmp_gt_u32_e64 s[0:1], 28, v120
                                        ; implicit-def: $vgpr70_vgpr71
                                        ; implicit-def: $vgpr86_vgpr87
	s_and_saveexec_b64 s[8:9], s[0:1]
	s_cbranch_execz .LBB0_14
; %bb.13:
	v_add_u32_e32 v86, 0x230, v120
	v_add_u32_e32 v88, 0x47c, v120
	v_mad_u64_u32 v[70:71], s[0:1], s20, v86, 0
	v_mad_u64_u32 v[72:73], s[0:1], s20, v88, 0
	;; [unrolled: 1-line block ×3, first 2 shown]
	v_mov_b32_e32 v71, v86
	s_waitcnt vmcnt(18)
	v_mad_u64_u32 v[86:87], s[0:1], s21, v88, v[73:74]
	v_lshlrev_b64 v[70:71], 4, v[70:71]
	v_add_co_u32_e64 v90, s[0:1], v48, v70
	v_mov_b32_e32 v73, v86
	v_addc_co_u32_e64 v91, s[0:1], v49, v71, s[0:1]
	v_lshlrev_b64 v[70:71], 4, v[72:73]
	v_add_co_u32_e64 v48, s[0:1], v48, v70
	v_addc_co_u32_e64 v49, s[0:1], v49, v71, s[0:1]
	global_load_dwordx4 v[70:73], v[90:91], off
	global_load_dwordx4 v[86:89], v[48:49], off
.LBB0_14:
	s_or_b64 exec, exec, s[8:9]
.LBB0_15:
	s_or_b64 exec, exec, s[6:7]
	s_waitcnt vmcnt(18)
	v_add_f64 v[92:93], v[50:51], -v[74:75]
	s_waitcnt vmcnt(14)
	v_add_f64 v[100:101], v[62:63], -v[78:79]
	v_add_f64 v[96:97], v[66:67], -v[82:83]
	s_waitcnt vmcnt(8)
	v_add_f64 v[125:126], v[12:13], -v[44:45]
	v_lshl_add_u32 v44, v120, 4, 0
	s_waitcnt vmcnt(6)
	v_add_f64 v[135:136], v[8:9], -v[36:37]
	v_lshl_add_u32 v36, v122, 4, 0
	v_add_f64 v[104:105], v[20:21], -v[58:59]
	v_fma_f64 v[90:91], v[50:51], 2.0, -v[92:93]
	v_fma_f64 v[98:99], v[62:63], 2.0, -v[100:101]
	v_fma_f64 v[94:95], v[66:67], 2.0, -v[96:97]
	v_add_f64 v[108:109], v[16:17], -v[54:55]
	v_lshl_add_u32 v37, v121, 4, 0
	s_waitcnt vmcnt(0)
	v_add_f64 v[50:51], v[70:71], -v[86:87]
	v_fma_f64 v[123:124], v[12:13], 2.0, -v[125:126]
	v_fma_f64 v[102:103], v[20:21], 2.0, -v[104:105]
	ds_write_b128 v44, v[90:93]
	ds_write_b128 v37, v[94:97]
	ds_write_b128 v36, v[98:101]
	v_add_f64 v[92:93], v[4:5], -v[28:29]
	v_add_f64 v[96:97], v[0:1], -v[40:41]
	;; [unrolled: 1-line block ×3, first 2 shown]
	v_fma_f64 v[106:107], v[16:17], 2.0, -v[108:109]
	v_fma_f64 v[133:134], v[8:9], 2.0, -v[135:136]
	;; [unrolled: 1-line block ×3, first 2 shown]
	v_add_u32_e32 v86, 0x230, v120
	v_lshl_add_u32 v28, v129, 4, 0
	v_fma_f64 v[90:91], v[4:5], 2.0, -v[92:93]
	v_fma_f64 v[94:95], v[0:1], 2.0, -v[96:97]
	;; [unrolled: 1-line block ×3, first 2 shown]
	v_lshl_add_u32 v29, v130, 4, 0
	v_lshl_add_u32 v40, v131, 4, 0
	;; [unrolled: 1-line block ×6, first 2 shown]
	v_cmp_gt_u32_e64 s[0:1], 28, v120
	v_lshl_add_u32 v32, v86, 4, 0
	ds_write_b128 v28, v[102:105]
	ds_write_b128 v29, v[106:109]
	;; [unrolled: 1-line block ×7, first 2 shown]
	s_and_saveexec_b64 s[6:7], s[0:1]
	s_cbranch_execz .LBB0_17
; %bb.16:
	ds_write_b128 v32, v[48:51]
.LBB0_17:
	s_or_b64 exec, exec, s[6:7]
	v_lshl_add_u32 v125, v120, 3, 0
	v_lshlrev_b32_e32 v45, 3, v122
	v_lshlrev_b32_e32 v74, 3, v129
	v_add_u32_e32 v0, 0x1000, v125
	v_sub_u32_e32 v4, v36, v45
	v_sub_u32_e32 v5, v28, v74
	s_waitcnt lgkmcnt(0)
	; wave barrier
	s_waitcnt lgkmcnt(0)
	ds_read2_b64 v[90:93], v0 offset0:76 offset1:132
	v_lshl_add_u32 v123, v121, 3, 0
	ds_read2_b64 v[94:97], v0 offset0:188 offset1:244
	ds_read_b64 v[0:1], v125
	ds_read_b64 v[8:9], v123
	;; [unrolled: 1-line block ×4, first 2 shown]
	v_lshlrev_b32_e32 v79, 3, v130
	v_lshlrev_b32_e32 v4, 3, v131
	;; [unrolled: 1-line block ×4, first 2 shown]
	v_sub_u32_e32 v20, v29, v79
	v_add_u32_e32 v21, 0x1800, v125
	v_sub_u32_e32 v24, v40, v4
	v_sub_u32_e32 v58, v41, v5
	v_sub_u32_e32 v62, v54, v33
	ds_read2_b64 v[102:105], v21 offset0:44 offset1:100
	ds_read2_b64 v[98:101], v21 offset0:156 offset1:212
	ds_read_b64 v[20:21], v20
	ds_read_b64 v[24:25], v24
	;; [unrolled: 1-line block ×4, first 2 shown]
	v_lshlrev_b32_e32 v78, 3, v115
	v_lshlrev_b32_e32 v87, 3, v116
	v_sub_u32_e32 v66, v55, v78
	v_add_u32_e32 v67, 0x2000, v125
	v_sub_u32_e32 v70, v82, v87
	ds_read2_b64 v[106:109], v67 offset0:12 offset1:68
	ds_read_b64 v[66:67], v66
	ds_read_b64 v[70:71], v70
	s_and_saveexec_b64 s[6:7], s[0:1]
	s_cbranch_execz .LBB0_19
; %bb.18:
	ds_read_b64 v[48:49], v125 offset:4480
	ds_read_b64 v[50:51], v125 offset:9184
.LBB0_19:
	s_or_b64 exec, exec, s[6:7]
	v_add_f64 v[135:136], v[52:53], -v[76:77]
	v_add_f64 v[139:140], v[68:69], -v[84:85]
	v_sub_u32_e32 v85, 0, v4
	v_sub_u32_e32 v84, 0, v5
	v_add_f64 v[163:164], v[2:3], -v[42:43]
	v_add_f64 v[4:5], v[72:73], -v[88:89]
	;; [unrolled: 1-line block ×3, first 2 shown]
	v_sub_u32_e32 v75, 0, v45
	v_sub_u32_e32 v45, 0, v79
	;; [unrolled: 1-line block ×3, first 2 shown]
	v_add_f64 v[78:79], v[22:23], -v[60:61]
	v_add_f64 v[147:148], v[18:19], -v[56:57]
	;; [unrolled: 1-line block ×5, first 2 shown]
	v_fma_f64 v[133:134], v[52:53], 2.0, -v[135:136]
	v_add_f64 v[167:168], v[26:27], -v[34:35]
	v_fma_f64 v[161:162], v[2:3], 2.0, -v[163:164]
	v_fma_f64 v[2:3], v[72:73], 2.0, -v[4:5]
	;; [unrolled: 1-line block ×8, first 2 shown]
	v_sub_u32_e32 v74, 0, v74
	v_sub_u32_e32 v83, 0, v33
	;; [unrolled: 1-line block ×3, first 2 shown]
	v_fma_f64 v[157:158], v[6:7], 2.0, -v[159:160]
	v_fma_f64 v[165:166], v[26:27], 2.0, -v[167:168]
	s_waitcnt lgkmcnt(0)
	; wave barrier
	s_waitcnt lgkmcnt(0)
	ds_write_b128 v44, v[133:136]
	ds_write_b128 v37, v[137:140]
	;; [unrolled: 1-line block ×10, first 2 shown]
	s_and_saveexec_b64 s[6:7], s[0:1]
	s_cbranch_execz .LBB0_21
; %bb.20:
	ds_write_b128 v32, v[2:5]
.LBB0_21:
	s_or_b64 exec, exec, s[6:7]
	v_add_u32_e32 v6, 0x1000, v125
	s_waitcnt lgkmcnt(0)
	; wave barrier
	s_waitcnt lgkmcnt(0)
	ds_read2_b64 v[30:33], v6 offset0:76 offset1:132
	v_add_u32_e32 v126, v36, v75
	ds_read2_b64 v[34:37], v6 offset0:188 offset1:244
	v_add_u32_e32 v133, v29, v45
	v_add_u32_e32 v6, 0x1800, v125
	v_add_u32_e32 v128, v28, v74
	ds_read_b64 v[74:75], v125
	ds_read_b64 v[76:77], v123
	;; [unrolled: 1-line block ×4, first 2 shown]
	ds_read2_b64 v[42:45], v6 offset0:44 offset1:100
	v_add_u32_e32 v134, v40, v85
	v_add_u32_e32 v127, v41, v84
	ds_read2_b64 v[26:29], v6 offset0:156 offset1:212
	v_add_u32_e32 v135, v54, v83
	ds_read_b64 v[60:61], v133
	ds_read_b64 v[64:65], v134
	;; [unrolled: 1-line block ×4, first 2 shown]
	v_add_u32_e32 v147, v55, v81
	v_add_u32_e32 v6, 0x2000, v125
	ds_read2_b64 v[38:41], v6 offset0:12 offset1:68
	v_add_u32_e32 v124, v82, v80
	ds_read_b64 v[80:81], v147
	ds_read_b64 v[82:83], v124
	v_lshlrev_b32_e32 v136, 1, v120
	v_lshlrev_b32_e32 v137, 1, v121
	;; [unrolled: 1-line block ×10, first 2 shown]
	s_and_saveexec_b64 s[6:7], s[0:1]
	s_cbranch_execz .LBB0_23
; %bb.22:
	ds_read_b64 v[2:3], v125 offset:4480
	ds_read_b64 v[4:5], v125 offset:9184
.LBB0_23:
	s_or_b64 exec, exec, s[6:7]
	v_and_b32_e32 v148, 1, v120
	v_lshlrev_b32_e32 v6, 4, v148
	global_load_dwordx4 v[52:55], v6, s[12:13]
	s_movk_i32 s6, 0x7c
	s_movk_i32 s7, 0xfc
	;; [unrolled: 1-line block ×3, first 2 shown]
	v_and_or_b32 v6, v136, s6, v148
	v_and_or_b32 v7, v137, s7, v148
	s_movk_i32 s9, 0x3fc
	s_movk_i32 s14, 0x2fc
	v_and_or_b32 v10, v138, s8, v148
	v_and_or_b32 v11, v139, s8, v148
	v_lshl_add_u32 v149, v6, 3, 0
	v_lshl_add_u32 v150, v7, 3, 0
	v_and_or_b32 v14, v140, s9, v148
	v_and_or_b32 v15, v141, s14, v148
	v_lshl_add_u32 v151, v10, 3, 0
	v_lshl_add_u32 v152, v11, 3, 0
	s_movk_i32 s15, 0x7fc
	v_and_or_b32 v18, v143, s9, v148
	v_and_or_b32 v19, v144, s9, v148
	v_lshl_add_u32 v153, v14, 3, 0
	v_lshl_add_u32 v154, v15, 3, 0
	v_and_or_b32 v22, v145, s9, v148
	v_and_or_b32 v23, v146, s15, v148
	v_lshl_add_u32 v155, v18, 3, 0
	v_lshl_add_u32 v156, v19, 3, 0
	;; [unrolled: 1-line block ×4, first 2 shown]
	v_lshlrev_b32_e32 v142, 1, v86
	s_waitcnt lgkmcnt(0)
	; wave barrier
	s_waitcnt vmcnt(0) lgkmcnt(0)
	v_mul_f64 v[6:7], v[30:31], v[54:55]
	v_mul_f64 v[46:47], v[44:45], v[54:55]
	;; [unrolled: 1-line block ×11, first 2 shown]
	v_fma_f64 v[6:7], v[90:91], v[52:53], -v[6:7]
	v_fma_f64 v[46:47], v[104:105], v[52:53], -v[46:47]
	;; [unrolled: 1-line block ×11, first 2 shown]
	v_add_f64 v[6:7], v[0:1], -v[6:7]
	v_add_f64 v[159:160], v[24:25], -v[46:47]
	;; [unrolled: 1-line block ×11, first 2 shown]
	v_fma_f64 v[0:1], v[0:1], 2.0, -v[6:7]
	v_fma_f64 v[48:49], v[48:49], 2.0, -v[46:47]
	;; [unrolled: 1-line block ×11, first 2 shown]
	ds_write2_b64 v149, v[0:1], v[6:7] offset1:2
	ds_write2_b64 v150, v[8:9], v[10:11] offset1:2
	;; [unrolled: 1-line block ×10, first 2 shown]
	s_and_saveexec_b64 s[6:7], s[0:1]
	s_cbranch_execz .LBB0_25
; %bb.24:
	s_movk_i32 s8, 0x4fc
	v_and_or_b32 v0, v142, s8, v148
	v_lshl_add_u32 v0, v0, 3, 0
	ds_write2_b64 v0, v[48:49], v[46:47] offset1:2
.LBB0_25:
	s_or_b64 exec, exec, s[6:7]
	v_add_u32_e32 v0, 0x1000, v125
	s_waitcnt lgkmcnt(0)
	; wave barrier
	s_waitcnt lgkmcnt(0)
	ds_read2_b64 v[14:17], v0 offset0:76 offset1:132
	ds_read2_b64 v[6:9], v0 offset0:188 offset1:244
	ds_read_b64 v[58:59], v125
	ds_read_b64 v[62:63], v123
	;; [unrolled: 1-line block ×4, first 2 shown]
	v_add_u32_e32 v0, 0x1800, v125
	ds_read2_b64 v[18:21], v0 offset0:44 offset1:100
	ds_read2_b64 v[10:13], v0 offset0:156 offset1:212
	ds_read_b64 v[84:85], v133
	ds_read_b64 v[86:87], v134
	;; [unrolled: 1-line block ×4, first 2 shown]
	v_add_u32_e32 v0, 0x2000, v125
	ds_read2_b64 v[22:25], v0 offset0:12 offset1:68
	ds_read_b64 v[116:117], v147
	ds_read_b64 v[118:119], v124
	s_and_saveexec_b64 s[6:7], s[0:1]
	s_cbranch_execz .LBB0_27
; %bb.26:
	ds_read_b64 v[48:49], v125 offset:4480
	ds_read_b64 v[46:47], v125 offset:9184
.LBB0_27:
	s_or_b64 exec, exec, s[6:7]
	v_mul_f64 v[0:1], v[90:91], v[54:55]
	v_mul_f64 v[90:91], v[92:93], v[54:55]
	;; [unrolled: 1-line block ×7, first 2 shown]
	s_waitcnt lgkmcnt(0)
	v_fma_f64 v[0:1], v[30:31], v[52:53], v[0:1]
	v_fma_f64 v[30:31], v[32:33], v[52:53], v[90:91]
	;; [unrolled: 1-line block ×6, first 2 shown]
	v_mul_f64 v[44:45], v[98:99], v[54:55]
	v_mul_f64 v[90:91], v[100:101], v[54:55]
	;; [unrolled: 1-line block ×4, first 2 shown]
	v_fma_f64 v[4:5], v[4:5], v[52:53], v[50:51]
	v_add_f64 v[0:1], v[74:75], -v[0:1]
	v_add_f64 v[30:31], v[76:77], -v[30:31]
	;; [unrolled: 1-line block ×3, first 2 shown]
	v_fma_f64 v[26:27], v[26:27], v[52:53], v[44:45]
	v_fma_f64 v[28:29], v[28:29], v[52:53], v[90:91]
	;; [unrolled: 1-line block ×4, first 2 shown]
	v_add_f64 v[50:51], v[2:3], -v[4:5]
	v_add_f64 v[34:35], v[56:57], -v[34:35]
	;; [unrolled: 1-line block ×6, first 2 shown]
	v_fma_f64 v[44:45], v[74:75], 2.0, -v[0:1]
	v_add_f64 v[38:39], v[80:81], -v[38:39]
	v_add_f64 v[40:41], v[82:83], -v[40:41]
	v_fma_f64 v[52:53], v[2:3], 2.0, -v[50:51]
	v_fma_f64 v[54:55], v[76:77], 2.0, -v[30:31]
	;; [unrolled: 1-line block ×10, first 2 shown]
	; wave barrier
	ds_write2_b64 v149, v[44:45], v[0:1] offset1:2
	ds_write2_b64 v150, v[54:55], v[30:31] offset1:2
	;; [unrolled: 1-line block ×10, first 2 shown]
	s_and_saveexec_b64 s[6:7], s[0:1]
	s_cbranch_execz .LBB0_29
; %bb.28:
	s_movk_i32 s8, 0x4fc
	v_and_or_b32 v0, v142, s8, v148
	v_lshl_add_u32 v0, v0, 3, 0
	ds_write2_b64 v0, v[52:53], v[50:51] offset1:2
.LBB0_29:
	s_or_b64 exec, exec, s[6:7]
	v_add_u32_e32 v0, 0x1000, v125
	s_waitcnt lgkmcnt(0)
	; wave barrier
	s_waitcnt lgkmcnt(0)
	ds_read2_b64 v[38:41], v0 offset0:76 offset1:132
	ds_read2_b64 v[26:29], v0 offset0:188 offset1:244
	ds_read_b64 v[76:77], v125
	ds_read_b64 v[78:79], v123
	;; [unrolled: 1-line block ×4, first 2 shown]
	v_add_u32_e32 v0, 0x1800, v125
	ds_read2_b64 v[30:33], v0 offset0:44 offset1:100
	ds_read2_b64 v[34:37], v0 offset0:156 offset1:212
	ds_read_b64 v[56:57], v133
	ds_read_b64 v[60:61], v134
	;; [unrolled: 1-line block ×4, first 2 shown]
	v_add_u32_e32 v0, 0x2000, v125
	ds_read2_b64 v[42:45], v0 offset0:12 offset1:68
	ds_read_b64 v[72:73], v147
	ds_read_b64 v[74:75], v124
	s_and_saveexec_b64 s[6:7], s[0:1]
	s_cbranch_execz .LBB0_31
; %bb.30:
	ds_read_b64 v[52:53], v125 offset:4480
	ds_read_b64 v[50:51], v125 offset:9184
.LBB0_31:
	s_or_b64 exec, exec, s[6:7]
	v_and_b32_e32 v80, 3, v120
	v_lshlrev_b32_e32 v0, 4, v80
	global_load_dwordx4 v[0:3], v0, s[12:13] offset:32
	s_movk_i32 s6, 0x78
	s_movk_i32 s7, 0xf8
	;; [unrolled: 1-line block ×3, first 2 shown]
	v_and_or_b32 v81, v136, s6, v80
	v_and_or_b32 v82, v137, s7, v80
	s_movk_i32 s9, 0x3f8
	s_movk_i32 s14, 0x2f8
	v_and_or_b32 v83, v138, s8, v80
	v_and_or_b32 v90, v139, s8, v80
	;; [unrolled: 1-line block ×6, first 2 shown]
	s_movk_i32 s15, 0x7f8
	v_and_or_b32 v95, v145, s9, v80
	v_and_or_b32 v96, v146, s15, v80
	v_lshl_add_u32 v81, v81, 3, 0
	v_lshl_add_u32 v82, v82, 3, 0
	;; [unrolled: 1-line block ×10, first 2 shown]
	s_waitcnt lgkmcnt(0)
	; wave barrier
	s_waitcnt vmcnt(0) lgkmcnt(0)
	v_mul_f64 v[97:98], v[38:39], v[2:3]
	v_mul_f64 v[99:100], v[40:41], v[2:3]
	;; [unrolled: 1-line block ×10, first 2 shown]
	v_fma_f64 v[97:98], v[14:15], v[0:1], -v[97:98]
	v_fma_f64 v[99:100], v[16:17], v[0:1], -v[99:100]
	v_fma_f64 v[101:102], v[6:7], v[0:1], -v[101:102]
	v_fma_f64 v[103:104], v[8:9], v[0:1], -v[103:104]
	v_fma_f64 v[105:106], v[18:19], v[0:1], -v[105:106]
	v_fma_f64 v[107:108], v[20:21], v[0:1], -v[107:108]
	v_fma_f64 v[136:137], v[10:11], v[0:1], -v[136:137]
	v_fma_f64 v[138:139], v[12:13], v[0:1], -v[138:139]
	v_fma_f64 v[140:141], v[22:23], v[0:1], -v[140:141]
	v_fma_f64 v[143:144], v[24:25], v[0:1], -v[143:144]
	v_add_f64 v[97:98], v[58:59], -v[97:98]
	v_add_f64 v[99:100], v[62:63], -v[99:100]
	;; [unrolled: 1-line block ×10, first 2 shown]
	v_fma_f64 v[58:59], v[58:59], 2.0, -v[97:98]
	v_fma_f64 v[62:63], v[62:63], 2.0, -v[99:100]
	;; [unrolled: 1-line block ×10, first 2 shown]
	ds_write2_b64 v81, v[58:59], v[97:98] offset1:4
	ds_write2_b64 v82, v[62:63], v[99:100] offset1:4
	;; [unrolled: 1-line block ×10, first 2 shown]
	s_and_saveexec_b64 s[6:7], s[0:1]
	s_cbranch_execz .LBB0_33
; %bb.32:
	v_mul_f64 v[58:59], v[50:51], v[2:3]
	s_movk_i32 s8, 0x4f8
	v_and_or_b32 v62, v142, s8, v80
	v_lshl_add_u32 v62, v62, 3, 0
	v_fma_f64 v[58:59], v[46:47], v[0:1], -v[58:59]
	v_add_f64 v[58:59], v[48:49], -v[58:59]
	v_fma_f64 v[48:49], v[48:49], 2.0, -v[58:59]
	ds_write2_b64 v62, v[48:49], v[58:59] offset1:4
.LBB0_33:
	s_or_b64 exec, exec, s[6:7]
	v_mul_f64 v[14:15], v[14:15], v[2:3]
	v_mul_f64 v[16:17], v[16:17], v[2:3]
	;; [unrolled: 1-line block ×8, first 2 shown]
	v_fma_f64 v[14:15], v[38:39], v[0:1], v[14:15]
	v_fma_f64 v[16:17], v[40:41], v[0:1], v[16:17]
	v_fma_f64 v[8:9], v[28:29], v[0:1], v[8:9]
	v_fma_f64 v[18:19], v[30:31], v[0:1], v[18:19]
	v_mul_f64 v[24:25], v[24:25], v[2:3]
	v_fma_f64 v[6:7], v[26:27], v[0:1], v[6:7]
	v_mul_f64 v[22:23], v[22:23], v[2:3]
	v_fma_f64 v[10:11], v[34:35], v[0:1], v[10:11]
	v_add_f64 v[48:49], v[76:77], -v[14:15]
	v_add_f64 v[62:63], v[78:79], -v[16:17]
	v_fma_f64 v[14:15], v[32:33], v[0:1], v[20:21]
	v_add_f64 v[84:85], v[56:57], -v[18:19]
	v_fma_f64 v[12:13], v[36:37], v[0:1], v[12:13]
	v_fma_f64 v[20:21], v[44:45], v[0:1], v[24:25]
	v_add_f64 v[66:67], v[4:5], -v[6:7]
	v_fma_f64 v[16:17], v[42:43], v[0:1], v[22:23]
	v_fma_f64 v[70:71], v[76:77], 2.0, -v[48:49]
	v_fma_f64 v[76:77], v[78:79], 2.0, -v[62:63]
	v_add_f64 v[78:79], v[54:55], -v[8:9]
	v_add_f64 v[86:87], v[60:61], -v[14:15]
	v_add_f64 v[88:89], v[64:65], -v[10:11]
	v_fma_f64 v[107:108], v[56:57], 2.0, -v[84:85]
	v_add_u32_e32 v56, 0x1400, v125
	v_add_u32_e32 v57, 0xc00, v125
	v_add_f64 v[97:98], v[68:69], -v[12:13]
	v_add_f64 v[101:102], v[74:75], -v[20:21]
	v_fma_f64 v[105:106], v[54:55], 2.0, -v[78:79]
	v_add_u32_e32 v54, 0x1800, v125
	v_fma_f64 v[103:104], v[4:5], 2.0, -v[66:67]
	s_waitcnt lgkmcnt(0)
	; wave barrier
	s_waitcnt lgkmcnt(0)
	ds_read2st64_b64 v[4:7], v125 offset1:7
	ds_read2_b64 v[8:11], v56 offset0:88 offset1:144
	ds_read2_b64 v[20:23], v54 offset0:72 offset1:128
	;; [unrolled: 1-line block ×4, first 2 shown]
	ds_read_b64 v[42:43], v123
	ds_read_b64 v[40:41], v126
	;; [unrolled: 1-line block ×4, first 2 shown]
	v_add_f64 v[99:100], v[72:73], -v[16:17]
	v_add_u32_e32 v55, 0x1000, v125
	v_add_u32_e32 v58, 0x2000, v125
	ds_read2_b64 v[28:31], v55 offset0:104 offset1:160
	ds_read_b64 v[34:35], v134
	ds_read2_b64 v[16:19], v58 offset0:40 offset1:96
	ds_read_b64 v[44:45], v135
	ds_read_b64 v[32:33], v127
	v_fma_f64 v[59:60], v[60:61], 2.0, -v[86:87]
	v_fma_f64 v[64:65], v[64:65], 2.0, -v[88:89]
	;; [unrolled: 1-line block ×5, first 2 shown]
	s_waitcnt lgkmcnt(0)
	; wave barrier
	s_waitcnt lgkmcnt(0)
	ds_write2_b64 v81, v[70:71], v[48:49] offset1:4
	ds_write2_b64 v82, v[76:77], v[62:63] offset1:4
	;; [unrolled: 1-line block ×10, first 2 shown]
	s_and_saveexec_b64 s[6:7], s[0:1]
	s_cbranch_execz .LBB0_35
; %bb.34:
	v_mul_f64 v[2:3], v[46:47], v[2:3]
	s_movk_i32 s0, 0x4f8
	v_and_or_b32 v46, v142, s0, v80
	v_lshl_add_u32 v46, v46, 3, 0
	v_fma_f64 v[0:1], v[50:51], v[0:1], v[2:3]
	v_add_f64 v[0:1], v[52:53], -v[0:1]
	v_fma_f64 v[2:3], v[52:53], 2.0, -v[0:1]
	ds_write2_b64 v46, v[2:3], v[0:1] offset1:4
.LBB0_35:
	s_or_b64 exec, exec, s[6:7]
	v_and_b32_e32 v109, 7, v120
	v_lshlrev_b32_e32 v50, 5, v109
	s_waitcnt lgkmcnt(0)
	; wave barrier
	s_waitcnt lgkmcnt(0)
	global_load_dwordx4 v[0:3], v50, s[12:13] offset:96
	global_load_dwordx4 v[46:49], v50, s[12:13] offset:112
	ds_read2st64_b64 v[50:53], v125 offset1:7
	ds_read2_b64 v[59:62], v56 offset0:88 offset1:144
	ds_read2_b64 v[63:66], v54 offset0:72 offset1:128
	;; [unrolled: 1-line block ×4, first 2 shown]
	ds_read_b64 v[83:84], v123
	ds_read_b64 v[85:86], v126
	ds_read_b64 v[87:88], v128
	ds_read_b64 v[89:90], v133
	ds_read2_b64 v[75:78], v55 offset0:104 offset1:160
	ds_read_b64 v[91:92], v134
	ds_read2_b64 v[79:82], v58 offset0:40 offset1:96
	ds_read_b64 v[93:94], v135
	ds_read_b64 v[95:96], v127
	s_mov_b32 s0, 0xe8584caa
	s_mov_b32 s1, 0x3febb67a
	;; [unrolled: 1-line block ×4, first 2 shown]
	s_waitcnt lgkmcnt(0)
	; wave barrier
	s_waitcnt lgkmcnt(0)
	s_mov_b32 s18, 0x36b3c0b5
	s_mov_b32 s20, 0xe976ee23
	;; [unrolled: 1-line block ×16, first 2 shown]
	s_waitcnt vmcnt(1)
	v_mul_f64 v[107:108], v[6:7], v[2:3]
	s_waitcnt vmcnt(0)
	v_mul_f64 v[116:117], v[20:21], v[48:49]
	v_mul_f64 v[97:98], v[93:94], v[2:3]
	;; [unrolled: 1-line block ×7, first 2 shown]
	v_fma_f64 v[52:53], v[52:53], v[0:1], v[107:108]
	v_fma_f64 v[63:64], v[63:64], v[46:47], v[116:117]
	v_mul_f64 v[118:119], v[67:68], v[2:3]
	v_mul_f64 v[133:134], v[24:25], v[2:3]
	;; [unrolled: 1-line block ×20, first 2 shown]
	v_fma_f64 v[44:45], v[44:45], v[0:1], -v[97:98]
	v_fma_f64 v[93:94], v[93:94], v[0:1], v[99:100]
	v_fma_f64 v[10:11], v[10:11], v[46:47], -v[101:102]
	v_fma_f64 v[61:62], v[61:62], v[46:47], v[103:104]
	v_fma_f64 v[6:7], v[6:7], v[0:1], -v[105:106]
	v_fma_f64 v[20:21], v[20:21], v[46:47], -v[114:115]
	v_add_f64 v[101:102], v[52:53], -v[63:64]
	v_add_f64 v[103:104], v[83:84], v[52:53]
	v_add_f64 v[52:53], v[52:53], v[63:64]
	v_fma_f64 v[24:25], v[24:25], v[0:1], -v[118:119]
	v_fma_f64 v[67:68], v[67:68], v[0:1], v[133:134]
	v_fma_f64 v[22:23], v[22:23], v[46:47], -v[135:136]
	v_fma_f64 v[65:66], v[65:66], v[46:47], v[137:138]
	;; [unrolled: 2-line block ×10, first 2 shown]
	v_add_f64 v[46:47], v[4:5], v[44:45]
	v_add_f64 v[81:82], v[50:51], v[93:94]
	;; [unrolled: 1-line block ×4, first 2 shown]
	v_add_f64 v[6:7], v[6:7], -v[20:21]
	v_fma_f64 v[52:53], v[52:53], -0.5, v[83:84]
	v_add_f64 v[48:49], v[44:45], v[10:11]
	v_add_f64 v[44:45], v[44:45], -v[10:11]
	v_add_f64 v[105:106], v[40:41], v[24:25]
	v_add_f64 v[114:115], v[67:68], -v[65:66]
	v_add_f64 v[116:117], v[85:86], v[67:68]
	v_add_f64 v[67:68], v[67:68], v[65:66]
	;; [unrolled: 1-line block ×4, first 2 shown]
	v_fma_f64 v[81:82], v[6:7], s[6:7], v[52:53]
	v_fma_f64 v[6:7], v[6:7], s[0:1], v[52:53]
	v_add_f64 v[52:53], v[26:27], v[12:13]
	v_add_f64 v[59:60], v[93:94], -v[61:62]
	v_add_f64 v[93:94], v[93:94], v[61:62]
	v_add_f64 v[107:108], v[24:25], v[22:23]
	;; [unrolled: 1-line block ×3, first 2 shown]
	v_fma_f64 v[67:68], v[67:68], -0.5, v[85:86]
	v_add_f64 v[22:23], v[24:25], -v[22:23]
	v_add_f64 v[83:84], v[38:39], v[26:27]
	v_add_f64 v[85:86], v[69:70], v[71:72]
	v_fma_f64 v[38:39], v[52:53], -0.5, v[38:39]
	v_add_f64 v[52:53], v[69:70], -v[71:72]
	v_add_f64 v[69:70], v[87:88], v[69:70]
	v_fma_f64 v[4:5], v[48:49], -0.5, v[4:5]
	v_fma_f64 v[48:49], v[93:94], -0.5, v[50:51]
	v_fma_f64 v[93:94], v[22:23], s[6:7], v[67:68]
	v_fma_f64 v[67:68], v[22:23], s[0:1], v[67:68]
	v_add_f64 v[22:23], v[83:84], v[12:13]
	v_add_f64 v[83:84], v[28:29], v[14:15]
	v_fma_f64 v[85:86], v[85:86], -0.5, v[87:88]
	v_add_f64 v[12:13], v[26:27], -v[12:13]
	v_fma_f64 v[26:27], v[52:53], s[0:1], v[38:39]
	v_fma_f64 v[38:39], v[52:53], s[6:7], v[38:39]
	v_add_f64 v[52:53], v[69:70], v[71:72]
	v_add_f64 v[69:70], v[75:76], v[73:74]
	;; [unrolled: 1-line block ×4, first 2 shown]
	v_fma_f64 v[36:37], v[83:84], -0.5, v[36:37]
	v_add_f64 v[83:84], v[75:76], -v[73:74]
	v_fma_f64 v[87:88], v[12:13], s[6:7], v[85:86]
	v_add_f64 v[97:98], v[30:31], v[16:17]
	v_fma_f64 v[85:86], v[12:13], s[0:1], v[85:86]
	v_add_f64 v[12:13], v[89:90], v[75:76]
	v_fma_f64 v[69:70], v[69:70], -0.5, v[89:90]
	v_add_f64 v[28:29], v[28:29], -v[14:15]
	v_add_f64 v[75:76], v[34:35], v[30:31]
	v_add_f64 v[14:15], v[71:72], v[14:15]
	v_fma_f64 v[71:72], v[83:84], s[0:1], v[36:37]
	v_fma_f64 v[34:35], v[97:98], -0.5, v[34:35]
	v_add_f64 v[89:90], v[77:78], -v[79:80]
	v_fma_f64 v[36:37], v[83:84], s[6:7], v[36:37]
	v_add_f64 v[73:74], v[12:13], v[73:74]
	v_fma_f64 v[83:84], v[28:29], s[6:7], v[69:70]
	v_add_f64 v[12:13], v[77:78], v[79:80]
	;; [unrolled: 2-line block ×3, first 2 shown]
	v_add_f64 v[75:76], v[8:9], v[2:3]
	v_fma_f64 v[97:98], v[89:90], s[0:1], v[34:35]
	v_fma_f64 v[34:35], v[89:90], s[6:7], v[34:35]
	v_add_f64 v[89:90], v[0:1], v[18:19]
	v_add_f64 v[77:78], v[91:92], v[77:78]
	v_fma_f64 v[12:13], v[12:13], -0.5, v[91:92]
	v_add_f64 v[16:17], v[30:31], -v[16:17]
	v_add_f64 v[30:31], v[32:33], v[8:9]
	v_fma_f64 v[32:33], v[75:76], -0.5, v[32:33]
	v_add_f64 v[75:76], v[0:1], -v[18:19]
	v_add_f64 v[0:1], v[95:96], v[0:1]
	v_add_f64 v[8:9], v[8:9], -v[2:3]
	v_add_f64 v[77:78], v[77:78], v[79:80]
	v_add_f64 v[50:51], v[103:104], v[63:64]
	v_fma_f64 v[79:80], v[16:17], s[6:7], v[12:13]
	v_fma_f64 v[16:17], v[16:17], s[0:1], v[12:13]
	v_add_f64 v[2:3], v[30:31], v[2:3]
	v_fma_f64 v[12:13], v[75:76], s[0:1], v[32:33]
	v_fma_f64 v[30:31], v[75:76], s[6:7], v[32:33]
	v_add_f64 v[75:76], v[0:1], v[18:19]
	v_lshrrev_b32_e32 v1, 3, v121
	v_mul_lo_u32 v1, v1, 24
	v_fma_f64 v[63:64], v[59:60], s[0:1], v[4:5]
	v_lshrrev_b32_e32 v0, 3, v120
	v_fma_f64 v[4:5], v[59:60], s[6:7], v[4:5]
	v_mul_u32_u24_e32 v0, 24, v0
	v_fma_f64 v[42:43], v[99:100], -0.5, v[42:43]
	v_or_b32_e32 v0, v0, v109
	v_fma_f64 v[89:90], v[89:90], -0.5, v[95:96]
	v_lshl_add_u32 v95, v0, 3, 0
	v_or_b32_e32 v0, v1, v109
	v_lshrrev_b32_e32 v1, 3, v122
	v_mul_lo_u32 v1, v1, 24
	ds_write2_b64 v95, v[10:11], v[63:64] offset1:8
	ds_write_b64 v95, v[4:5] offset:128
	v_lshl_add_u32 v4, v0, 3, 0
	v_fma_f64 v[59:60], v[44:45], s[6:7], v[48:49]
	v_or_b32_e32 v0, v1, v109
	v_lshrrev_b32_e32 v1, 3, v129
	v_mul_lo_u32 v1, v1, 24
	v_fma_f64 v[44:45], v[44:45], s[0:1], v[48:49]
	v_fma_f64 v[48:49], v[101:102], s[0:1], v[42:43]
	;; [unrolled: 1-line block ×3, first 2 shown]
	v_fma_f64 v[40:41], v[107:108], -0.5, v[40:41]
	v_lshl_add_u32 v5, v0, 3, 0
	v_or_b32_e32 v0, v1, v109
	v_lshrrev_b32_e32 v1, 3, v130
	v_mul_lo_u32 v1, v1, 24
	ds_write2_b64 v4, v[20:21], v[48:49] offset1:8
	ds_write_b64 v4, v[42:43] offset:128
	v_lshl_add_u32 v43, v0, 3, 0
	v_or_b32_e32 v0, v1, v109
	v_lshrrev_b32_e32 v1, 3, v131
	v_mul_lo_u32 v1, v1, 24
	v_fma_f64 v[24:25], v[114:115], s[0:1], v[40:41]
	v_fma_f64 v[40:41], v[114:115], s[6:7], v[40:41]
	v_lshl_add_u32 v48, v0, 3, 0
	v_or_b32_e32 v0, v1, v109
	v_lshrrev_b32_e32 v1, 3, v132
	v_mul_lo_u32 v1, v1, 24
	v_add_f64 v[65:66], v[116:117], v[65:66]
	v_lshl_add_u32 v49, v0, 3, 0
	v_fma_f64 v[91:92], v[8:9], s[6:7], v[89:90]
	v_or_b32_e32 v0, v1, v109
	v_fma_f64 v[89:90], v[8:9], s[0:1], v[89:90]
	ds_write2_b64 v5, v[61:62], v[24:25] offset1:8
	ds_write_b64 v5, v[40:41] offset:128
	v_lshl_add_u32 v61, v0, 3, 0
	v_add_u32_e32 v18, 0x800, v125
	s_movk_i32 s0, 0xab
	ds_write2_b64 v43, v[22:23], v[26:27] offset1:8
	ds_write_b64 v43, v[38:39] offset:128
	ds_write2_b64 v48, v[14:15], v[71:72] offset1:8
	ds_write_b64 v48, v[36:37] offset:128
	ds_write2_b64 v49, v[28:29], v[97:98] offset1:8
	ds_write_b64 v49, v[34:35] offset:128
	ds_write2_b64 v61, v[2:3], v[12:13] offset1:8
	ds_write_b64 v61, v[30:31] offset:128
	s_waitcnt lgkmcnt(0)
	; wave barrier
	s_waitcnt lgkmcnt(0)
	ds_read2_b64 v[8:11], v125 offset1:224
	ds_read_b64 v[107:108], v127
	ds_read_b64 v[118:119], v124
	ds_read2_b64 v[12:15], v55 offset0:104 offset1:160
	ds_read2_b64 v[19:22], v54 offset0:72 offset1:128
	;; [unrolled: 1-line block ×3, first 2 shown]
	ds_read_b64 v[2:3], v123
	ds_read2_b64 v[27:30], v18 offset0:24 offset1:136
	ds_read2_b64 v[31:34], v57 offset0:64 offset1:176
	;; [unrolled: 1-line block ×4, first 2 shown]
	ds_read_b64 v[173:174], v128
	ds_read_b64 v[0:1], v126
	s_waitcnt lgkmcnt(0)
	; wave barrier
	s_waitcnt lgkmcnt(0)
	ds_write2_b64 v95, v[46:47], v[59:60] offset1:8
	ds_write_b64 v95, v[44:45] offset:128
	ds_write2_b64 v4, v[50:51], v[81:82] offset1:8
	ds_write_b64 v4, v[6:7] offset:128
	;; [unrolled: 2-line block ×7, first 2 shown]
	v_mul_lo_u16_sdwa v4, v120, s0 dst_sel:DWORD dst_unused:UNUSED_PAD src0_sel:BYTE_0 src1_sel:DWORD
	v_lshrrev_b16_e32 v4, 12, v4
	v_mul_lo_u16_e32 v5, 24, v4
	v_sub_u16_e32 v5, v120, v5
	v_mov_b32_e32 v16, 6
	v_mul_u32_u24_sdwa v6, v5, v16 dst_sel:DWORD dst_unused:UNUSED_PAD src0_sel:BYTE_0 src1_sel:DWORD
	v_lshlrev_b32_e32 v6, 4, v6
	s_waitcnt lgkmcnt(0)
	; wave barrier
	s_waitcnt lgkmcnt(0)
	global_load_dwordx4 v[43:46], v6, s[12:13] offset:352
	global_load_dwordx4 v[47:50], v6, s[12:13] offset:368
	;; [unrolled: 1-line block ×6, first 2 shown]
	v_mul_lo_u16_sdwa v6, v121, s0 dst_sel:DWORD dst_unused:UNUSED_PAD src0_sel:BYTE_0 src1_sel:DWORD
	v_lshrrev_b16_e32 v6, 12, v6
	v_mul_lo_u16_e32 v7, 24, v6
	v_sub_u16_e32 v7, v121, v7
	v_mul_u32_u24_sdwa v17, v7, v16 dst_sel:DWORD dst_unused:UNUSED_PAD src0_sel:BYTE_0 src1_sel:DWORD
	v_lshlrev_b32_e32 v17, 4, v17
	global_load_dwordx4 v[75:78], v17, s[12:13] offset:352
	global_load_dwordx4 v[79:82], v17, s[12:13] offset:368
	;; [unrolled: 1-line block ×6, first 2 shown]
	v_mul_lo_u16_sdwa v17, v122, s0 dst_sel:DWORD dst_unused:UNUSED_PAD src0_sel:BYTE_0 src1_sel:DWORD
	v_lshrrev_b16_e32 v53, 12, v17
	v_mul_lo_u16_e32 v17, 24, v53
	v_sub_u16_e32 v109, v122, v17
	v_mul_u32_u24_sdwa v16, v109, v16 dst_sel:DWORD dst_unused:UNUSED_PAD src0_sel:BYTE_0 src1_sel:DWORD
	v_lshlrev_b32_e32 v16, 4, v16
	global_load_dwordx4 v[99:102], v16, s[12:13] offset:352
	global_load_dwordx4 v[103:106], v16, s[12:13] offset:368
	;; [unrolled: 1-line block ×6, first 2 shown]
	ds_read2_b64 v[141:144], v125 offset1:224
	ds_read_b64 v[16:17], v127
	ds_read_b64 v[51:52], v128
	;; [unrolled: 1-line block ×3, first 2 shown]
	ds_read2_b64 v[145:148], v55 offset0:104 offset1:160
	ds_read_b64 v[177:178], v123
	ds_read_b64 v[179:180], v126
	ds_read2_b64 v[149:152], v54 offset0:72 offset1:128
	ds_read2_b64 v[153:156], v54 offset0:184 offset1:240
	ds_read2_b64 v[157:160], v18 offset0:24 offset1:136
	ds_read2_b64 v[161:164], v57 offset0:64 offset1:176
	ds_read2_b64 v[165:168], v56 offset0:88 offset1:144
	ds_read2_b64 v[169:172], v58 offset0:40 offset1:96
	s_mov_b32 s6, 0x37e14327
	s_mov_b32 s0, 0x429ad128
	;; [unrolled: 1-line block ×4, first 2 shown]
	v_mul_u32_u24_e32 v4, 0x540, v4
	s_waitcnt lgkmcnt(0)
	; wave barrier
	s_waitcnt vmcnt(17) lgkmcnt(0)
	v_mul_f64 v[181:182], v[51:52], v[45:46]
	v_mul_f64 v[45:46], v[173:174], v[45:46]
	s_waitcnt vmcnt(13)
	v_mul_f64 v[183:184], v[149:150], v[69:70]
	v_mul_f64 v[69:70], v[19:20], v[69:70]
	v_fma_f64 v[173:174], v[173:174], v[43:44], -v[181:182]
	v_fma_f64 v[43:44], v[51:52], v[43:44], v[45:46]
	v_mul_f64 v[45:46], v[16:17], v[49:50]
	v_mul_f64 v[49:50], v[107:108], v[49:50]
	;; [unrolled: 1-line block ×6, first 2 shown]
	v_fma_f64 v[19:20], v[19:20], v[67:68], -v[183:184]
	v_fma_f64 v[45:46], v[107:108], v[47:48], -v[45:46]
	v_fma_f64 v[16:17], v[16:17], v[47:48], v[49:50]
	v_fma_f64 v[47:48], v[118:119], v[59:60], -v[51:52]
	v_fma_f64 v[49:50], v[175:176], v[59:60], v[61:62]
	;; [unrolled: 2-line block ×3, first 2 shown]
	v_fma_f64 v[59:60], v[149:150], v[67:68], v[69:70]
	s_waitcnt vmcnt(12)
	v_mul_f64 v[61:62], v[155:156], v[73:74]
	v_mul_f64 v[63:64], v[25:26], v[73:74]
	s_waitcnt vmcnt(11)
	v_mul_f64 v[65:66], v[143:144], v[77:78]
	v_mul_f64 v[67:68], v[10:11], v[77:78]
	;; [unrolled: 3-line block ×4, first 2 shown]
	v_fma_f64 v[25:26], v[25:26], v[71:72], -v[61:62]
	v_fma_f64 v[61:62], v[155:156], v[71:72], v[63:64]
	v_fma_f64 v[10:11], v[10:11], v[75:76], -v[65:66]
	v_fma_f64 v[63:64], v[143:144], v[75:76], v[67:68]
	;; [unrolled: 2-line block ×4, first 2 shown]
	s_waitcnt vmcnt(8)
	v_mul_f64 v[69:70], v[165:166], v[89:90]
	v_mul_f64 v[71:72], v[35:36], v[89:90]
	s_waitcnt vmcnt(6)
	v_mul_f64 v[73:74], v[151:152], v[97:98]
	v_mul_f64 v[75:76], v[21:22], v[97:98]
	;; [unrolled: 1-line block ×4, first 2 shown]
	s_waitcnt vmcnt(5)
	v_mul_f64 v[83:84], v[27:28], v[101:102]
	s_waitcnt vmcnt(1)
	v_mul_f64 v[89:90], v[153:154], v[135:136]
	v_fma_f64 v[35:36], v[35:36], v[87:88], -v[69:70]
	v_fma_f64 v[69:70], v[165:166], v[87:88], v[71:72]
	v_fma_f64 v[21:22], v[21:22], v[95:96], -v[73:74]
	v_fma_f64 v[71:72], v[151:152], v[95:96], v[75:76]
	v_fma_f64 v[39:40], v[39:40], v[91:92], -v[77:78]
	v_fma_f64 v[73:74], v[169:170], v[91:92], v[79:80]
	v_fma_f64 v[75:76], v[157:158], v[99:100], v[83:84]
	v_mul_f64 v[77:78], v[161:162], v[105:106]
	v_mul_f64 v[79:80], v[31:32], v[105:106]
	;; [unrolled: 1-line block ×4, first 2 shown]
	v_fma_f64 v[23:24], v[23:24], v[133:134], -v[89:90]
	v_add_f64 v[89:90], v[173:174], v[25:26]
	v_add_f64 v[93:94], v[16:17], v[59:60]
	v_mul_f64 v[81:82], v[157:158], v[101:102]
	v_fma_f64 v[31:32], v[31:32], v[103:104], -v[77:78]
	v_fma_f64 v[77:78], v[161:162], v[103:104], v[79:80]
	v_fma_f64 v[79:80], v[145:146], v[114:115], v[83:84]
	;; [unrolled: 1-line block ×3, first 2 shown]
	v_add_f64 v[91:92], v[43:44], v[61:62]
	v_add_f64 v[43:44], v[43:44], -v[61:62]
	v_add_f64 v[61:62], v[45:46], v[19:20]
	v_add_f64 v[25:26], v[173:174], -v[25:26]
	v_add_f64 v[19:20], v[45:46], -v[19:20]
	;; [unrolled: 1-line block ×3, first 2 shown]
	v_add_f64 v[45:46], v[47:48], v[14:15]
	v_add_f64 v[59:60], v[49:50], v[51:52]
	v_add_f64 v[14:15], v[14:15], -v[47:48]
	v_add_f64 v[47:48], v[51:52], -v[49:50]
	v_add_f64 v[49:50], v[61:62], v[89:90]
	v_add_f64 v[51:52], v[93:94], v[91:92]
	v_fma_f64 v[27:28], v[27:28], v[99:100], -v[81:82]
	v_add_f64 v[95:96], v[61:62], -v[89:90]
	v_add_f64 v[97:98], v[93:94], -v[91:92]
	;; [unrolled: 1-line block ×6, first 2 shown]
	v_add_f64 v[99:100], v[14:15], v[19:20]
	v_add_f64 v[101:102], v[47:48], v[16:17]
	v_add_f64 v[103:104], v[14:15], -v[19:20]
	v_add_f64 v[105:106], v[47:48], -v[16:17]
	v_add_f64 v[45:46], v[45:46], v[49:50]
	v_add_f64 v[49:50], v[59:60], v[51:52]
	v_add_f64 v[19:20], v[19:20], -v[25:26]
	v_add_f64 v[16:17], v[16:17], -v[43:44]
	;; [unrolled: 1-line block ×4, first 2 shown]
	v_add_f64 v[25:26], v[99:100], v[25:26]
	v_add_f64 v[43:44], v[101:102], v[43:44]
	;; [unrolled: 1-line block ×4, first 2 shown]
	v_mul_f64 v[51:52], v[89:90], s[6:7]
	v_mul_f64 v[89:90], v[91:92], s[6:7]
	;; [unrolled: 1-line block ×11, first 2 shown]
	v_fma_f64 v[45:46], v[45:46], s[22:23], v[8:9]
	v_fma_f64 v[49:50], v[49:50], s[22:23], v[59:60]
	;; [unrolled: 1-line block ×4, first 2 shown]
	v_fma_f64 v[91:92], v[95:96], s[14:15], -v[91:92]
	v_fma_f64 v[99:100], v[97:98], s[14:15], -v[99:100]
	;; [unrolled: 1-line block ×4, first 2 shown]
	v_fma_f64 v[95:96], v[14:15], s[26:27], v[101:102]
	v_fma_f64 v[97:98], v[47:48], s[26:27], v[103:104]
	v_fma_f64 v[16:17], v[16:17], s[0:1], -v[103:104]
	v_fma_f64 v[14:15], v[14:15], s[24:25], -v[105:106]
	;; [unrolled: 1-line block ×5, first 2 shown]
	v_fma_f64 v[81:82], v[167:168], v[129:130], v[87:88]
	s_waitcnt vmcnt(0)
	v_mul_f64 v[85:86], v[171:172], v[139:140]
	v_mul_f64 v[87:88], v[41:42], v[139:140]
	v_fma_f64 v[19:20], v[19:20], s[0:1], -v[101:102]
	v_add_f64 v[61:62], v[61:62], v[45:46]
	v_add_f64 v[93:94], v[93:94], v[49:50]
	;; [unrolled: 1-line block ×6, first 2 shown]
	v_fma_f64 v[47:48], v[43:44], s[8:9], v[47:48]
	v_fma_f64 v[14:15], v[25:26], s[8:9], v[14:15]
	;; [unrolled: 1-line block ×6, first 2 shown]
	v_fma_f64 v[25:26], v[41:42], v[137:138], -v[85:86]
	v_fma_f64 v[41:42], v[171:172], v[137:138], v[87:88]
	v_add_f64 v[87:88], v[47:48], v[45:46]
	v_add_f64 v[95:96], v[49:50], -v[14:15]
	v_add_f64 v[97:98], v[91:92], -v[16:17]
	v_add_f64 v[16:17], v[16:17], v[91:92]
	v_add_f64 v[45:46], v[45:46], -v[47:48]
	v_add_f64 v[91:92], v[14:15], v[49:50]
	v_add_f64 v[14:15], v[10:11], v[39:40]
	;; [unrolled: 1-line block ×3, first 2 shown]
	v_add_f64 v[10:11], v[10:11], -v[39:40]
	v_add_f64 v[39:40], v[63:64], -v[73:74]
	v_add_f64 v[49:50], v[29:30], v[21:22]
	v_add_f64 v[63:64], v[65:66], v[71:72]
	v_add_f64 v[21:22], v[29:30], -v[21:22]
	v_add_f64 v[29:30], v[65:66], -v[71:72]
	v_add_f64 v[65:66], v[33:34], v[35:36]
	v_add_f64 v[71:72], v[67:68], v[69:70]
	;; [unrolled: 4-line block ×3, first 2 shown]
	v_add_f64 v[101:102], v[19:20], v[99:100]
	v_add_f64 v[19:20], v[99:100], -v[19:20]
	v_add_f64 v[73:74], v[49:50], -v[14:15]
	;; [unrolled: 1-line block ×7, first 2 shown]
	v_add_f64 v[103:104], v[33:34], v[21:22]
	v_add_f64 v[105:106], v[35:36], v[29:30]
	v_add_f64 v[107:108], v[33:34], -v[21:22]
	v_add_f64 v[114:115], v[35:36], -v[29:30]
	v_add_f64 v[65:66], v[65:66], v[67:68]
	v_add_f64 v[67:68], v[71:72], v[69:70]
	v_add_f64 v[21:22], v[21:22], -v[10:11]
	v_add_f64 v[29:30], v[29:30], -v[39:40]
	;; [unrolled: 1-line block ×4, first 2 shown]
	v_add_f64 v[10:11], v[103:104], v[10:11]
	v_add_f64 v[39:40], v[105:106], v[39:40]
	v_add_f64 v[2:3], v[2:3], v[65:66]
	v_add_f64 v[69:70], v[177:178], v[67:68]
	v_mul_f64 v[14:15], v[14:15], s[6:7]
	v_mul_f64 v[47:48], v[47:48], s[6:7]
	;; [unrolled: 1-line block ×8, first 2 shown]
	v_fma_f64 v[65:66], v[65:66], s[22:23], v[2:3]
	v_fma_f64 v[67:68], v[67:68], s[22:23], v[69:70]
	;; [unrolled: 1-line block ×4, first 2 shown]
	v_fma_f64 v[71:72], v[73:74], s[14:15], -v[71:72]
	v_fma_f64 v[103:104], v[99:100], s[14:15], -v[103:104]
	v_fma_f64 v[14:15], v[73:74], s[16:17], -v[14:15]
	v_fma_f64 v[47:48], v[99:100], s[16:17], -v[47:48]
	v_fma_f64 v[73:74], v[33:34], s[26:27], v[105:106]
	v_fma_f64 v[99:100], v[35:36], s[26:27], v[107:108]
	v_fma_f64 v[21:22], v[21:22], s[0:1], -v[105:106]
	v_fma_f64 v[29:30], v[29:30], s[0:1], -v[107:108]
	;; [unrolled: 1-line block ×4, first 2 shown]
	v_add_f64 v[63:64], v[63:64], v[67:68]
	v_add_f64 v[71:72], v[71:72], v[65:66]
	v_add_f64 v[103:104], v[103:104], v[67:68]
	v_add_f64 v[14:15], v[14:15], v[65:66]
	v_add_f64 v[47:48], v[47:48], v[67:68]
	v_fma_f64 v[67:68], v[10:11], s[8:9], v[73:74]
	v_fma_f64 v[33:34], v[10:11], s[8:9], v[33:34]
	;; [unrolled: 1-line block ×5, first 2 shown]
	v_add_f64 v[43:44], v[51:52], v[61:62]
	v_add_f64 v[85:86], v[93:94], -v[89:90]
	v_add_f64 v[49:50], v[49:50], v[65:66]
	v_fma_f64 v[65:66], v[39:40], s[8:9], v[99:100]
	v_add_f64 v[21:22], v[61:62], -v[51:52]
	v_add_f64 v[61:62], v[89:90], v[93:94]
	v_add_f64 v[51:52], v[35:36], v[14:15]
	v_add_f64 v[93:94], v[71:72], -v[29:30]
	v_add_f64 v[99:100], v[10:11], v[103:104]
	v_add_f64 v[29:30], v[29:30], v[71:72]
	v_add_f64 v[71:72], v[103:104], -v[10:11]
	v_add_f64 v[10:11], v[14:15], -v[35:36]
	v_add_f64 v[14:15], v[27:28], v[25:26]
	v_add_f64 v[35:36], v[31:32], v[23:24]
	v_add_f64 v[89:90], v[47:48], -v[33:34]
	v_add_f64 v[103:104], v[33:34], v[47:48]
	v_add_f64 v[33:34], v[75:76], v[41:42]
	v_add_f64 v[25:26], v[27:28], -v[25:26]
	v_add_f64 v[27:28], v[75:76], -v[41:42]
	v_add_f64 v[41:42], v[77:78], v[83:84]
	v_add_f64 v[23:24], v[31:32], -v[23:24]
	v_add_f64 v[31:32], v[77:78], -v[83:84]
	v_add_f64 v[47:48], v[12:13], v[37:38]
	v_add_f64 v[75:76], v[79:80], v[81:82]
	v_add_f64 v[12:13], v[37:38], -v[12:13]
	v_add_f64 v[37:38], v[81:82], -v[79:80]
	v_add_f64 v[77:78], v[35:36], v[14:15]
	v_add_f64 v[79:80], v[41:42], v[33:34]
	v_add_f64 v[81:82], v[35:36], -v[14:15]
	v_add_f64 v[83:84], v[41:42], -v[33:34]
	;; [unrolled: 1-line block ×6, first 2 shown]
	v_add_f64 v[105:106], v[12:13], v[23:24]
	v_add_f64 v[107:108], v[37:38], v[31:32]
	v_add_f64 v[114:115], v[12:13], -v[23:24]
	v_add_f64 v[116:117], v[37:38], -v[31:32]
	v_add_f64 v[47:48], v[47:48], v[77:78]
	v_add_f64 v[31:32], v[31:32], -v[27:28]
	v_add_f64 v[75:76], v[75:76], v[79:80]
	v_add_f64 v[23:24], v[23:24], -v[25:26]
	v_add_f64 v[12:13], v[25:26], -v[12:13]
	;; [unrolled: 1-line block ×3, first 2 shown]
	v_add_f64 v[25:26], v[105:106], v[25:26]
	v_add_f64 v[27:28], v[107:108], v[27:28]
	;; [unrolled: 1-line block ×3, first 2 shown]
	v_mul_f64 v[14:15], v[14:15], s[6:7]
	v_mul_f64 v[33:34], v[33:34], s[6:7]
	;; [unrolled: 1-line block ×7, first 2 shown]
	v_add_f64 v[77:78], v[179:180], v[75:76]
	v_mul_f64 v[116:117], v[23:24], s[0:1]
	v_fma_f64 v[47:48], v[47:48], s[22:23], v[0:1]
	v_fma_f64 v[35:36], v[35:36], s[18:19], v[14:15]
	;; [unrolled: 1-line block ×3, first 2 shown]
	v_fma_f64 v[79:80], v[81:82], s[14:15], -v[79:80]
	v_fma_f64 v[105:106], v[83:84], s[14:15], -v[105:106]
	v_fma_f64 v[14:15], v[81:82], s[16:17], -v[14:15]
	v_fma_f64 v[33:34], v[83:84], s[16:17], -v[33:34]
	v_fma_f64 v[83:84], v[37:38], s[26:27], v[114:115]
	v_fma_f64 v[31:32], v[31:32], s[0:1], -v[114:115]
	v_fma_f64 v[37:38], v[37:38], s[24:25], -v[118:119]
	v_fma_f64 v[75:76], v[75:76], s[22:23], v[77:78]
	v_fma_f64 v[23:24], v[23:24], s[0:1], -v[107:108]
	v_fma_f64 v[81:82], v[12:13], s[26:27], v[107:108]
	v_fma_f64 v[12:13], v[12:13], s[24:25], -v[116:117]
	v_add_f64 v[35:36], v[35:36], v[47:48]
	v_add_f64 v[79:80], v[79:80], v[47:48]
	;; [unrolled: 1-line block ×3, first 2 shown]
	v_fma_f64 v[47:48], v[27:28], s[8:9], v[83:84]
	v_fma_f64 v[37:38], v[27:28], s[8:9], v[37:38]
	;; [unrolled: 1-line block ×3, first 2 shown]
	v_add_f64 v[105:106], v[105:106], v[75:76]
	v_fma_f64 v[23:24], v[25:26], s[8:9], v[23:24]
	v_add_f64 v[33:34], v[33:34], v[75:76]
	v_fma_f64 v[12:13], v[25:26], s[8:9], v[12:13]
	v_add_f64 v[39:40], v[65:66], v[49:50]
	v_add_f64 v[41:42], v[41:42], v[75:76]
	v_fma_f64 v[75:76], v[25:26], s[8:9], v[81:82]
	v_add_f64 v[31:32], v[47:48], v[35:36]
	v_add_f64 v[25:26], v[49:50], -v[65:66]
	v_add_f64 v[49:50], v[37:38], v[14:15]
	v_add_f64 v[81:82], v[79:80], -v[27:28]
	v_add_f64 v[83:84], v[23:24], v[105:106]
	v_add_f64 v[27:28], v[27:28], v[79:80]
	v_add_f64 v[79:80], v[105:106], -v[23:24]
	v_add_f64 v[14:15], v[14:15], -v[37:38]
	v_mov_b32_e32 v23, 3
	v_add_f64 v[73:74], v[63:64], -v[67:68]
	v_add_f64 v[63:64], v[67:68], v[63:64]
	v_add_f64 v[67:68], v[33:34], -v[12:13]
	v_add_f64 v[105:106], v[12:13], v[33:34]
	v_add_f64 v[12:13], v[35:36], -v[47:48]
	v_lshlrev_b32_sdwa v5, v23, v5 dst_sel:DWORD dst_unused:UNUSED_PAD src0_sel:DWORD src1_sel:BYTE_0
	v_add3_u32 v47, 0, v4, v5
	v_mul_u32_u24_e32 v4, 0x540, v6
	v_lshlrev_b32_sdwa v5, v23, v7 dst_sel:DWORD dst_unused:UNUSED_PAD src0_sel:DWORD src1_sel:BYTE_0
	ds_write2_b64 v47, v[8:9], v[43:44] offset1:24
	ds_write2_b64 v47, v[87:88], v[97:98] offset0:48 offset1:72
	ds_write2_b64 v47, v[16:17], v[45:46] offset0:96 offset1:120
	ds_write_b64 v47, v[21:22] offset:1152
	v_add3_u32 v21, 0, v4, v5
	ds_write2_b64 v21, v[2:3], v[39:40] offset1:24
	ds_write2_b64 v21, v[51:52], v[93:94] offset0:48 offset1:72
	ds_write2_b64 v21, v[29:30], v[10:11] offset0:96 offset1:120
	ds_write_b64 v21, v[25:26] offset:1152
	v_mul_u32_u24_e32 v2, 0x540, v53
	v_lshlrev_b32_sdwa v3, v23, v109 dst_sel:DWORD dst_unused:UNUSED_PAD src0_sel:DWORD src1_sel:BYTE_0
	v_add3_u32 v26, 0, v2, v3
	v_add_f64 v[65:66], v[41:42], -v[75:76]
	v_add_f64 v[75:76], v[75:76], v[41:42]
	ds_write2_b64 v26, v[0:1], v[31:32] offset1:24
	ds_write2_b64 v26, v[49:50], v[81:82] offset0:48 offset1:72
	ds_write2_b64 v26, v[27:28], v[14:15] offset0:96 offset1:120
	ds_write_b64 v26, v[12:13] offset:1152
	s_waitcnt lgkmcnt(0)
	; wave barrier
	s_waitcnt lgkmcnt(0)
	ds_read2_b64 v[0:3], v125 offset1:224
	ds_read_b64 v[50:51], v127
	ds_read_b64 v[48:49], v124
	ds_read2_b64 v[4:7], v55 offset0:104 offset1:160
	ds_read2_b64 v[12:15], v54 offset0:72 offset1:128
	;; [unrolled: 1-line block ×3, first 2 shown]
	ds_read_b64 v[54:55], v123
	ds_read2_b64 v[22:25], v18 offset0:24 offset1:136
	ds_read2_b64 v[36:39], v57 offset0:64 offset1:176
	;; [unrolled: 1-line block ×4, first 2 shown]
	ds_read_b64 v[52:53], v128
	ds_read_b64 v[16:17], v126
	s_waitcnt lgkmcnt(0)
	; wave barrier
	s_waitcnt lgkmcnt(0)
	ds_write2_b64 v47, v[59:60], v[85:86] offset1:24
	ds_write2_b64 v47, v[95:96], v[101:102] offset0:48 offset1:72
	ds_write2_b64 v47, v[19:20], v[91:92] offset0:96 offset1:120
	ds_write_b64 v47, v[61:62] offset:1152
	ds_write2_b64 v21, v[69:70], v[73:74] offset1:24
	ds_write2_b64 v21, v[89:90], v[99:100] offset0:48 offset1:72
	ds_write2_b64 v21, v[71:72], v[103:104] offset0:96 offset1:120
	ds_write_b64 v21, v[63:64] offset:1152
	;; [unrolled: 4-line block ×3, first 2 shown]
	s_waitcnt lgkmcnt(0)
	; wave barrier
	s_waitcnt lgkmcnt(0)
	s_and_saveexec_b64 s[28:29], vcc
	s_cbranch_execz .LBB0_37
; %bb.36:
	v_mul_i32_i24_e32 v19, 6, v122
	v_mov_b32_e32 v20, 0
	v_lshlrev_b64 v[26:27], 4, v[19:20]
	v_mov_b32_e32 v21, s13
	v_add_co_u32_e32 v30, vcc, s12, v26
	v_addc_co_u32_e32 v31, vcc, v21, v27, vcc
	global_load_dwordx4 v[26:29], v[30:31], off offset:2656
	global_load_dwordx4 v[58:61], v[30:31], off offset:2736
	;; [unrolled: 1-line block ×6, first 2 shown]
	v_mul_i32_i24_e32 v19, 6, v121
	v_lshlrev_b64 v[19:20], 4, v[19:20]
	v_mul_lo_u32 v133, s4, v113
	v_add_co_u32_e32 v19, vcc, s12, v19
	v_addc_co_u32_e32 v20, vcc, v21, v20, vcc
	v_mul_lo_u32 v21, s5, v112
	v_mad_u64_u32 v[56:57], s[4:5], s4, v112, 0
	v_add_u32_e32 v106, 0x1400, v125
	v_add_u32_e32 v112, 0x1000, v125
	;; [unrolled: 1-line block ×4, first 2 shown]
	global_load_dwordx4 v[78:81], v[19:20], off offset:2656
	global_load_dwordx4 v[82:85], v[19:20], off offset:2736
	;; [unrolled: 1-line block ×5, first 2 shown]
	ds_read2_b64 v[98:101], v18 offset0:24 offset1:136
	v_add_u32_e32 v18, 0x2000, v125
	ds_read2_b64 v[44:47], v125 offset1:224
	ds_read_b64 v[121:122], v128
	ds_read_b64 v[137:138], v127
	;; [unrolled: 1-line block ×4, first 2 shown]
	ds_read2_b64 v[102:105], v18 offset0:40 offset1:96
	ds_read2_b64 v[106:109], v106 offset0:88 offset1:144
	;; [unrolled: 1-line block ×6, first 2 shown]
	v_add3_u32 v57, v57, v133, v21
	global_load_dwordx4 v[133:136], v[19:20], off offset:2720
	s_waitcnt vmcnt(11) lgkmcnt(11)
	v_mul_f64 v[18:19], v[28:29], v[98:99]
	s_waitcnt vmcnt(10) lgkmcnt(5)
	v_mul_f64 v[20:21], v[60:61], v[104:105]
	v_mul_f64 v[104:105], v[58:59], v[104:105]
	s_waitcnt vmcnt(8) lgkmcnt(3)
	v_mul_f64 v[143:144], v[68:69], v[112:113]
	s_waitcnt vmcnt(7) lgkmcnt(2)
	;; [unrolled: 2-line block ×3, first 2 shown]
	v_mul_f64 v[147:148], v[76:77], v[125:126]
	v_mul_f64 v[98:99], v[26:27], v[98:99]
	;; [unrolled: 1-line block ×7, first 2 shown]
	v_fma_f64 v[18:19], v[22:23], v[26:27], -v[18:19]
	v_fma_f64 v[20:21], v[42:43], v[58:59], -v[20:21]
	;; [unrolled: 1-line block ×4, first 2 shown]
	v_fma_f64 v[42:43], v[42:43], v[60:61], v[104:105]
	v_fma_f64 v[22:23], v[22:23], v[28:29], v[98:99]
	;; [unrolled: 1-line block ×4, first 2 shown]
	v_fma_f64 v[26:27], v[34:35], v[62:63], -v[141:142]
	v_fma_f64 v[62:63], v[36:37], v[70:71], -v[145:146]
	v_fma_f64 v[4:5], v[4:5], v[68:69], v[112:113]
	v_fma_f64 v[34:35], v[34:35], v[64:65], v[108:109]
	v_add_f64 v[64:65], v[18:19], -v[20:21]
	v_add_f64 v[72:73], v[22:23], v[42:43]
	v_add_f64 v[18:19], v[18:19], v[20:21]
	v_add_f64 v[74:75], v[28:29], v[8:9]
	v_add_f64 v[68:69], v[26:27], -v[58:59]
	v_add_f64 v[70:71], v[62:63], -v[66:67]
	v_add_f64 v[20:21], v[62:63], v[66:67]
	v_add_f64 v[76:77], v[34:35], v[4:5]
	;; [unrolled: 1-line block ×3, first 2 shown]
	v_add_f64 v[22:23], v[22:23], -v[42:43]
	v_add_f64 v[4:5], v[34:35], -v[4:5]
	;; [unrolled: 1-line block ×3, first 2 shown]
	v_add_f64 v[58:59], v[72:73], v[74:75]
	v_add_f64 v[34:35], v[64:65], -v[68:69]
	v_add_f64 v[28:29], v[68:69], -v[70:71]
	v_add_f64 v[42:43], v[68:69], v[70:71]
	v_add_f64 v[68:69], v[18:19], v[20:21]
	v_add_f64 v[62:63], v[72:73], -v[76:77]
	v_add_f64 v[66:67], v[76:77], -v[74:75]
	;; [unrolled: 1-line block ×6, first 2 shown]
	v_add_f64 v[4:5], v[4:5], v[8:9]
	v_add_f64 v[70:71], v[70:71], -v[64:65]
	v_add_f64 v[8:9], v[8:9], -v[22:23]
	v_add_f64 v[58:59], v[76:77], v[58:59]
	v_add_f64 v[26:27], v[26:27], v[68:69]
	v_add_f64 v[72:73], v[74:75], -v[72:73]
	v_add_f64 v[18:19], v[20:21], -v[18:19]
	v_mul_f64 v[20:21], v[28:29], s[20:21]
	v_add_f64 v[42:43], v[64:65], v[42:43]
	v_mul_f64 v[64:65], v[62:63], s[6:7]
	v_mul_f64 v[66:67], v[66:67], s[18:19]
	;; [unrolled: 1-line block ×5, first 2 shown]
	v_add_f64 v[4:5], v[22:23], v[4:5]
	v_mul_f64 v[22:23], v[70:71], s[0:1]
	v_mul_f64 v[104:105], v[8:9], s[0:1]
	v_add_f64 v[30:31], v[30:31], v[58:59]
	v_add_f64 v[28:29], v[16:17], v[26:27]
	v_fma_f64 v[112:113], v[34:35], s[26:27], v[20:21]
	v_fma_f64 v[62:63], v[62:63], s[6:7], v[66:67]
	;; [unrolled: 1-line block ×4, first 2 shown]
	v_fma_f64 v[22:23], v[34:35], s[24:25], -v[22:23]
	v_fma_f64 v[34:35], v[72:73], s[16:17], -v[64:65]
	;; [unrolled: 1-line block ×5, first 2 shown]
	v_fma_f64 v[58:59], v[58:59], s[22:23], v[30:31]
	v_fma_f64 v[8:9], v[8:9], s[0:1], -v[76:77]
	v_fma_f64 v[26:27], v[26:27], s[22:23], v[28:29]
	v_fma_f64 v[18:19], v[18:19], s[14:15], -v[74:75]
	v_fma_f64 v[104:105], v[42:43], s[8:9], v[112:113]
	v_fma_f64 v[98:99], v[4:5], s[8:9], v[98:99]
	;; [unrolled: 1-line block ×3, first 2 shown]
	s_waitcnt vmcnt(5)
	v_mul_f64 v[149:150], v[80:81], v[46:47]
	v_add_f64 v[116:117], v[62:63], v[58:59]
	v_add_f64 v[34:35], v[34:35], v[58:59]
	v_fma_f64 v[8:9], v[4:5], s[8:9], v[8:9]
	v_add_f64 v[4:5], v[66:67], v[58:59]
	s_waitcnt vmcnt(4)
	v_mul_f64 v[58:59], v[82:83], v[102:103]
	s_waitcnt vmcnt(1)
	v_mul_f64 v[60:61], v[96:97], v[100:101]
	v_add_f64 v[125:126], v[16:17], v[26:27]
	v_add_f64 v[141:142], v[64:65], v[26:27]
	;; [unrolled: 1-line block ×3, first 2 shown]
	s_waitcnt vmcnt(0) lgkmcnt(0)
	v_mul_f64 v[26:27], v[135:136], v[131:132]
	v_mul_f64 v[46:47], v[78:79], v[46:47]
	v_mul_f64 v[62:63], v[133:134], v[131:132]
	v_mul_f64 v[64:65], v[94:95], v[100:101]
	v_mul_f64 v[151:152], v[84:85], v[102:103]
	v_fma_f64 v[84:85], v[40:41], v[84:85], v[58:59]
	v_mul_u32_u24_e32 v58, 6, v120
	v_fma_f64 v[131:132], v[2:3], v[78:79], -v[149:150]
	v_lshlrev_b32_e32 v78, 4, v58
	v_fma_f64 v[20:21], v[70:71], s[0:1], -v[20:21]
	v_fma_f64 v[94:95], v[24:25], v[94:95], -v[60:61]
	;; [unrolled: 1-line block ×3, first 2 shown]
	v_fma_f64 v[46:47], v[2:3], v[80:81], v[46:47]
	v_fma_f64 v[14:15], v[14:15], v[135:136], v[62:63]
	;; [unrolled: 1-line block ×3, first 2 shown]
	global_load_dwordx4 v[58:61], v78, s[12:13] offset:2672
	global_load_dwordx4 v[62:65], v78, s[12:13] offset:2656
	;; [unrolled: 1-line block ×5, first 2 shown]
	v_mul_f64 v[153:154], v[88:89], v[106:107]
	global_load_dwordx4 v[78:81], v78, s[12:13] offset:2720
	v_mul_f64 v[36:37], v[92:93], v[118:119]
	v_mul_f64 v[2:3], v[90:91], v[118:119]
	v_fma_f64 v[108:109], v[42:43], s[8:9], v[22:23]
	v_fma_f64 v[42:43], v[42:43], s[8:9], v[20:21]
	v_fma_f64 v[40:41], v[40:41], v[82:83], -v[151:152]
	v_add_f64 v[133:134], v[94:95], -v[102:103]
	v_fma_f64 v[100:101], v[32:33], v[86:87], -v[153:154]
	v_mul_f64 v[86:87], v[86:87], v[106:107]
	v_fma_f64 v[36:37], v[38:39], v[90:91], -v[36:37]
	v_add_f64 v[135:136], v[46:47], v[84:85]
	v_add_f64 v[145:146], v[96:97], v[14:15]
	v_fma_f64 v[38:39], v[38:39], v[92:93], v[2:3]
	v_add_f64 v[26:27], v[4:5], -v[42:43]
	v_add_f64 v[24:25], v[8:9], v[143:144]
	v_add_f64 v[90:91], v[94:95], v[102:103]
	v_fma_f64 v[86:87], v[32:33], v[88:89], v[86:87]
	v_add_f64 v[82:83], v[100:101], -v[36:37]
	v_add_f64 v[88:89], v[131:132], v[40:41]
	v_add_f64 v[4:5], v[42:43], v[4:5]
	v_add_f64 v[2:3], v[143:144], -v[8:9]
	v_add_f64 v[8:9], v[131:132], -v[40:41]
	v_add_f64 v[40:41], v[135:136], v[145:146]
	v_add_f64 v[36:37], v[100:101], v[36:37]
	;; [unrolled: 1-line block ×3, first 2 shown]
	v_add_f64 v[92:93], v[82:83], -v[133:134]
	v_add_f64 v[94:95], v[88:89], v[90:91]
	v_add_f64 v[38:39], v[86:87], -v[38:39]
	v_add_f64 v[14:15], v[96:97], -v[14:15]
	v_add_f64 v[96:97], v[82:83], v[133:134]
	v_add_f64 v[46:47], v[46:47], -v[84:85]
	v_add_f64 v[102:103], v[36:37], -v[90:91]
	v_add_f64 v[40:41], v[42:43], v[40:41]
	v_mul_f64 v[86:87], v[92:93], s[20:21]
	v_add_f64 v[92:93], v[42:43], -v[145:146]
	v_add_f64 v[94:95], v[36:37], v[94:95]
	v_add_f64 v[42:43], v[135:136], -v[42:43]
	v_add_f64 v[20:21], v[141:142], -v[112:113]
	v_add_f64 v[32:33], v[112:113], v[141:142]
	v_add_f64 v[100:101], v[8:9], -v[82:83]
	v_add_f64 v[84:85], v[139:140], v[40:41]
	v_add_f64 v[106:107], v[38:39], -v[14:15]
	v_mul_f64 v[92:93], v[92:93], s[18:19]
	v_add_f64 v[82:83], v[54:55], v[94:95]
	v_add_f64 v[36:37], v[88:89], -v[36:37]
	v_mul_f64 v[54:55], v[102:103], s[18:19]
	v_add_f64 v[102:103], v[46:47], -v[38:39]
	v_add_f64 v[38:39], v[38:39], v[14:15]
	v_add_f64 v[96:97], v[8:9], v[96:97]
	v_fma_f64 v[112:113], v[40:41], s[22:23], v[84:85]
	v_fma_f64 v[40:41], v[42:43], s[6:7], v[92:93]
	v_add_f64 v[8:9], v[133:134], -v[8:9]
	v_add_f64 v[14:15], v[14:15], -v[46:47]
	;; [unrolled: 1-line block ×4, first 2 shown]
	v_add_f64 v[133:134], v[46:47], v[38:39]
	v_mul_f64 v[46:47], v[36:37], s[6:7]
	v_mul_f64 v[139:140], v[42:43], s[6:7]
	v_add_f64 v[141:142], v[40:41], v[112:113]
	v_mul_f64 v[40:41], v[8:9], s[0:1]
	v_add_f64 v[16:17], v[125:126], -v[98:99]
	v_fma_f64 v[94:95], v[94:95], s[22:23], v[82:83]
	v_fma_f64 v[118:119], v[36:37], s[6:7], v[54:55]
	v_add_f64 v[36:37], v[98:99], v[125:126]
	v_fma_f64 v[46:47], v[88:89], s[16:17], -v[46:47]
	v_fma_f64 v[92:93], v[135:136], s[14:15], -v[92:93]
	;; [unrolled: 1-line block ×4, first 2 shown]
	v_add_f64 v[22:23], v[108:109], v[34:35]
	v_add_f64 v[34:35], v[34:35], -v[108:109]
	v_mul_f64 v[106:107], v[106:107], s[20:21]
	v_fma_f64 v[108:109], v[100:101], s[26:27], v[86:87]
	v_mul_f64 v[90:91], v[14:15], s[0:1]
	v_fma_f64 v[100:101], v[135:136], s[16:17], -v[139:140]
	v_fma_f64 v[54:55], v[88:89], s[14:15], -v[54:55]
	v_fma_f64 v[86:87], v[96:97], s[8:9], v[98:99]
	v_add_f64 v[98:99], v[46:47], v[94:95]
	v_add_f64 v[46:47], v[92:93], v[112:113]
	v_fma_f64 v[92:93], v[96:97], s[8:9], v[8:9]
	ds_read_b64 v[8:9], v124
	v_add_f64 v[18:19], v[104:105], v[116:117]
	v_fma_f64 v[131:132], v[102:103], s[26:27], v[106:107]
	v_add_f64 v[118:119], v[118:119], v[94:95]
	v_add_f64 v[38:39], v[116:117], -v[104:105]
	v_fma_f64 v[90:91], v[102:103], s[24:25], -v[90:91]
	v_fma_f64 v[14:15], v[14:15], s[0:1], -v[106:107]
	v_add_f64 v[88:89], v[100:101], v[112:113]
	v_add_f64 v[54:55], v[54:55], v[94:95]
	s_waitcnt vmcnt(4)
	v_mul_f64 v[94:95], v[64:65], v[121:122]
	s_waitcnt vmcnt(2)
	v_mul_f64 v[100:101], v[72:73], v[114:115]
	s_waitcnt vmcnt(1) lgkmcnt(0)
	v_mul_f64 v[102:103], v[76:77], v[8:9]
	v_mul_f64 v[104:105], v[60:61], v[137:138]
	s_waitcnt vmcnt(0)
	v_mul_f64 v[106:107], v[80:81], v[129:130]
	v_mul_f64 v[112:113], v[66:67], v[127:128]
	;; [unrolled: 1-line block ×5, first 2 shown]
	v_fma_f64 v[108:109], v[96:97], s[8:9], v[108:109]
	v_mul_f64 v[96:97], v[68:69], v[127:128]
	v_fma_f64 v[100:101], v[6:7], v[70:71], -v[100:101]
	v_fma_f64 v[102:103], v[48:49], v[74:75], -v[102:103]
	;; [unrolled: 1-line block ×4, first 2 shown]
	v_fma_f64 v[68:69], v[10:11], v[68:69], v[112:113]
	v_fma_f64 v[104:105], v[52:53], v[64:65], v[116:117]
	;; [unrolled: 1-line block ×4, first 2 shown]
	v_mul_f64 v[8:9], v[74:75], v[8:9]
	v_mul_f64 v[12:13], v[70:71], v[114:115]
	v_fma_f64 v[14:15], v[133:134], s[8:9], v[14:15]
	v_fma_f64 v[50:51], v[52:53], v[62:63], -v[94:95]
	v_fma_f64 v[52:53], v[10:11], v[66:67], -v[96:97]
	v_add_f64 v[60:61], v[100:101], -v[102:103]
	v_add_f64 v[62:63], v[58:59], -v[78:79]
	v_add_f64 v[66:67], v[104:105], v[68:69]
	v_add_f64 v[70:71], v[80:81], v[64:65]
	v_fma_f64 v[74:75], v[48:49], v[76:77], v[8:9]
	v_fma_f64 v[72:73], v[6:7], v[72:73], v[12:13]
	;; [unrolled: 1-line block ×3, first 2 shown]
	v_add_f64 v[12:13], v[46:47], -v[92:93]
	v_add_f64 v[10:11], v[14:15], v[54:55]
	v_add_f64 v[94:95], v[60:61], -v[62:63]
	v_add_f64 v[48:49], v[92:93], v[46:47]
	v_add_f64 v[96:97], v[66:67], v[70:71]
	v_add_f64 v[46:47], v[54:55], -v[14:15]
	v_add_f64 v[106:107], v[72:73], v[74:75]
	v_add_f64 v[14:15], v[50:51], v[52:53]
	;; [unrolled: 1-line block ×4, first 2 shown]
	v_add_f64 v[6:7], v[98:99], -v[90:91]
	v_add_f64 v[76:77], v[50:51], -v[52:53]
	v_mul_f64 v[92:93], v[94:95], s[20:21]
	v_add_f64 v[52:53], v[88:89], -v[86:87]
	v_add_f64 v[94:95], v[106:107], v[96:97]
	v_add_f64 v[50:51], v[90:91], v[98:99]
	v_add_f64 v[86:87], v[106:107], -v[70:71]
	v_add_f64 v[88:89], v[14:15], v[54:55]
	v_add_f64 v[90:91], v[100:101], v[102:103]
	;; [unrolled: 1-line block ×3, first 2 shown]
	v_add_f64 v[78:79], v[76:77], -v[60:61]
	v_add_f64 v[68:69], v[104:105], -v[68:69]
	v_add_f64 v[60:61], v[44:45], v[94:95]
	v_add_f64 v[44:45], v[72:73], -v[74:75]
	v_add_f64 v[72:73], v[80:81], -v[64:65]
	;; [unrolled: 1-line block ×3, first 2 shown]
	v_mul_f64 v[80:81], v[86:87], s[18:19]
	v_add_f64 v[86:87], v[90:91], v[88:89]
	v_add_f64 v[88:89], v[90:91], -v[54:55]
	v_add_f64 v[98:99], v[76:77], v[58:59]
	v_add_f64 v[76:77], v[62:63], -v[76:77]
	;; [unrolled: 2-line block ×3, first 2 shown]
	v_add_f64 v[100:101], v[44:45], -v[72:73]
	v_fma_f64 v[102:103], v[74:75], s[6:7], v[80:81]
	v_add_f64 v[58:59], v[0:1], v[86:87]
	v_mul_f64 v[0:1], v[74:75], s[6:7]
	v_add_f64 v[74:75], v[14:15], -v[90:91]
	v_mul_f64 v[88:89], v[88:89], s[18:19]
	v_add_f64 v[90:91], v[68:69], -v[44:45]
	v_add_f64 v[44:45], v[44:45], v[72:73]
	v_add_f64 v[72:73], v[72:73], -v[68:69]
	v_mul_f64 v[108:109], v[76:77], s[0:1]
	v_add_f64 v[66:67], v[70:71], -v[66:67]
	v_fma_f64 v[86:87], v[86:87], s[22:23], v[58:59]
	v_mul_f64 v[104:105], v[74:75], s[6:7]
	v_fma_f64 v[74:75], v[74:75], s[6:7], v[88:89]
	v_add_f64 v[14:15], v[54:55], -v[14:15]
	v_mul_f64 v[100:101], v[100:101], s[20:21]
	v_mul_f64 v[54:55], v[72:73], s[0:1]
	v_fma_f64 v[70:71], v[78:79], s[24:25], -v[108:109]
	v_fma_f64 v[94:95], v[94:95], s[22:23], v[60:61]
	v_fma_f64 v[0:1], v[66:67], s[16:17], -v[0:1]
	v_fma_f64 v[66:67], v[66:67], s[14:15], -v[80:81]
	v_add_f64 v[112:113], v[74:75], v[86:87]
	v_fma_f64 v[74:75], v[14:15], s[16:17], -v[104:105]
	v_fma_f64 v[106:107], v[90:91], s[26:27], v[100:101]
	v_add_f64 v[44:45], v[68:69], v[44:45]
	v_fma_f64 v[54:55], v[90:91], s[24:25], -v[54:55]
	v_fma_f64 v[14:15], v[14:15], s[14:15], -v[88:89]
	v_fma_f64 v[88:89], v[98:99], s[8:9], v[70:71]
	v_fma_f64 v[70:71], v[72:73], s[0:1], -v[100:101]
	v_fma_f64 v[96:97], v[78:79], s[26:27], v[92:93]
	v_fma_f64 v[76:77], v[76:77], s[0:1], -v[92:93]
	v_add_f64 v[78:79], v[66:67], v[94:95]
	v_lshrrev_b32_e32 v66, 3, v120
	s_mov_b32 s0, 0x18618619
	v_add_f64 v[90:91], v[74:75], v[86:87]
	v_mul_hi_u32 v74, v66, s0
	v_fma_f64 v[104:105], v[44:45], s[8:9], v[106:107]
	v_fma_f64 v[54:55], v[44:45], s[8:9], v[54:55]
	;; [unrolled: 1-line block ×3, first 2 shown]
	v_lshrrev_b32_e32 v70, 1, v74
	s_movk_i32 s1, 0xa8
	v_add_f64 v[14:15], v[14:15], v[86:87]
	v_mul_lo_u32 v86, v70, s1
	v_add_f64 v[0:1], v[0:1], v[94:95]
	v_fma_f64 v[96:97], v[98:99], s[8:9], v[96:97]
	v_fma_f64 v[80:81], v[98:99], s[8:9], v[76:77]
	v_sub_u32_e32 v98, v120, v86
	v_add_f64 v[102:103], v[102:103], v[94:95]
	v_mad_u64_u32 v[94:95], s[4:5], s2, v98, 0
	v_add_f64 v[70:71], v[90:91], -v[54:55]
	v_add_f64 v[72:73], v[88:89], v[0:1]
	v_add_f64 v[88:89], v[0:1], -v[88:89]
	v_mov_b32_e32 v0, v95
	v_mad_u64_u32 v[0:1], s[4:5], s3, v98, v[0:1]
	v_add_f64 v[76:77], v[78:79], -v[80:81]
	v_add_f64 v[74:75], v[44:45], v[14:15]
	v_mov_b32_e32 v95, v0
	v_lshlrev_b64 v[0:1], 4, v[56:57]
	v_add_f64 v[80:81], v[80:81], v[78:79]
	v_add_f64 v[78:79], v[14:15], -v[44:45]
	v_add_f64 v[86:87], v[54:55], v[90:91]
	v_mov_b32_e32 v14, s11
	v_add_co_u32_e32 v44, vcc, s10, v0
	v_add_u32_e32 v54, 0xa8, v98
	v_addc_co_u32_e32 v45, vcc, v14, v1, vcc
	v_mad_u64_u32 v[14:15], s[4:5], s2, v54, 0
	v_lshlrev_b64 v[0:1], 4, v[110:111]
	v_add_f64 v[68:69], v[96:97], v[102:103]
	v_add_co_u32_e32 v57, vcc, v44, v0
	v_add_f64 v[92:93], v[102:103], -v[96:97]
	v_addc_co_u32_e32 v96, vcc, v45, v1, vcc
	v_mad_u64_u32 v[44:45], s[4:5], s3, v54, v[15:16]
	v_lshlrev_b64 v[0:1], 4, v[94:95]
	v_add_f64 v[90:91], v[104:105], v[112:113]
	v_add_co_u32_e32 v0, vcc, v57, v0
	v_addc_co_u32_e32 v1, vcc, v96, v1, vcc
	v_mov_b32_e32 v15, v44
	v_add_u32_e32 v44, 0x150, v98
	global_store_dwordx4 v[0:1], v[58:61], off
	v_lshlrev_b64 v[0:1], 4, v[14:15]
	v_mad_u64_u32 v[14:15], s[4:5], s2, v44, 0
	v_add_co_u32_e32 v0, vcc, v57, v0
	v_mad_u64_u32 v[44:45], s[4:5], s3, v44, v[15:16]
	v_add_u32_e32 v45, 0x1f8, v98
	v_mad_u64_u32 v[54:55], s[4:5], s2, v45, 0
	v_addc_co_u32_e32 v1, vcc, v96, v1, vcc
	v_mov_b32_e32 v15, v44
	global_store_dwordx4 v[0:1], v[90:93], off
	v_lshlrev_b64 v[0:1], 4, v[14:15]
	v_mov_b32_e32 v14, v55
	v_mad_u64_u32 v[14:15], s[4:5], s3, v45, v[14:15]
	v_add_u32_e32 v44, 0x2a0, v98
	v_add_co_u32_e32 v0, vcc, v57, v0
	v_mov_b32_e32 v55, v14
	v_mad_u64_u32 v[14:15], s[4:5], s2, v44, 0
	v_addc_co_u32_e32 v1, vcc, v96, v1, vcc
	v_mad_u64_u32 v[44:45], s[4:5], s3, v44, v[15:16]
	v_add_u32_e32 v45, 0x348, v98
	global_store_dwordx4 v[0:1], v[86:89], off
	v_lshlrev_b64 v[0:1], 4, v[54:55]
	v_mad_u64_u32 v[54:55], s[4:5], s2, v45, 0
	v_add_co_u32_e32 v0, vcc, v57, v0
	v_addc_co_u32_e32 v1, vcc, v96, v1, vcc
	v_mov_b32_e32 v15, v44
	global_store_dwordx4 v[0:1], v[78:81], off
	v_lshlrev_b64 v[0:1], 4, v[14:15]
	v_mov_b32_e32 v14, v55
	v_mad_u64_u32 v[14:15], s[4:5], s3, v45, v[14:15]
	v_add_co_u32_e32 v0, vcc, v57, v0
	v_add_u32_e32 v45, 56, v120
	v_addc_co_u32_e32 v1, vcc, v96, v1, vcc
	v_mov_b32_e32 v55, v14
	v_lshrrev_b32_e32 v14, 3, v45
	global_store_dwordx4 v[0:1], v[74:77], off
	v_lshlrev_b64 v[0:1], 4, v[54:55]
	v_mul_hi_u32 v54, v14, s0
	v_add_u32_e32 v44, 0x3f0, v98
	v_mad_u64_u32 v[14:15], s[4:5], s2, v44, 0
	v_lshrrev_b32_e32 v54, 1, v54
	v_add_co_u32_e32 v0, vcc, v57, v0
	v_mul_lo_u32 v55, v54, s1
	v_addc_co_u32_e32 v1, vcc, v96, v1, vcc
	global_store_dwordx4 v[0:1], v[70:73], off
	v_mov_b32_e32 v0, v15
	v_mad_u64_u32 v[0:1], s[4:5], s3, v44, v[0:1]
	v_sub_u32_e32 v1, v45, v55
	s_movk_i32 s6, 0x498
	v_mad_u64_u32 v[44:45], s[4:5], v54, s6, v[1:2]
	v_mov_b32_e32 v15, v0
	v_lshlrev_b64 v[0:1], 4, v[14:15]
	v_mad_u64_u32 v[14:15], s[4:5], s2, v44, 0
	v_add_f64 v[66:67], v[112:113], -v[104:105]
	v_add_u32_e32 v45, 0xa8, v44
	v_mad_u64_u32 v[54:55], s[4:5], s3, v44, v[15:16]
	v_mad_u64_u32 v[55:56], s[4:5], s2, v45, 0
	v_fma_f64 v[131:132], v[133:134], s[8:9], v[131:132]
	v_add_co_u32_e32 v0, vcc, v57, v0
	v_addc_co_u32_e32 v1, vcc, v96, v1, vcc
	v_mov_b32_e32 v15, v54
	global_store_dwordx4 v[0:1], v[66:69], off
	v_lshlrev_b64 v[0:1], 4, v[14:15]
	v_mov_b32_e32 v14, v56
	v_mad_u64_u32 v[14:15], s[4:5], s3, v45, v[14:15]
	v_add_u32_e32 v45, 0x150, v44
	v_add_f64 v[62:63], v[131:132], v[118:119]
	v_mov_b32_e32 v56, v14
	v_mad_u64_u32 v[14:15], s[4:5], s2, v45, 0
	v_add_co_u32_e32 v0, vcc, v57, v0
	v_addc_co_u32_e32 v1, vcc, v96, v1, vcc
	global_store_dwordx4 v[0:1], v[82:85], off
	v_lshlrev_b64 v[0:1], 4, v[55:56]
	v_mad_u64_u32 v[54:55], s[4:5], s3, v45, v[15:16]
	v_add_u32_e32 v45, 0x1f8, v44
	v_mad_u64_u32 v[55:56], s[4:5], s2, v45, 0
	v_add_co_u32_e32 v0, vcc, v57, v0
	v_addc_co_u32_e32 v1, vcc, v96, v1, vcc
	v_mov_b32_e32 v15, v54
	global_store_dwordx4 v[0:1], v[62:65], off
	v_lshlrev_b64 v[0:1], 4, v[14:15]
	v_mov_b32_e32 v14, v56
	v_mad_u64_u32 v[14:15], s[4:5], s3, v45, v[14:15]
	v_add_u32_e32 v45, 0x2a0, v44
	v_add_co_u32_e32 v0, vcc, v57, v0
	v_mov_b32_e32 v56, v14
	v_mad_u64_u32 v[14:15], s[4:5], s2, v45, 0
	v_addc_co_u32_e32 v1, vcc, v96, v1, vcc
	global_store_dwordx4 v[0:1], v[50:53], off
	v_lshlrev_b64 v[0:1], 4, v[55:56]
	v_mad_u64_u32 v[50:51], s[4:5], s3, v45, v[15:16]
	v_add_co_u32_e32 v0, vcc, v57, v0
	v_addc_co_u32_e32 v1, vcc, v96, v1, vcc
	v_mov_b32_e32 v15, v50
	global_store_dwordx4 v[0:1], v[46:49], off
	v_lshlrev_b64 v[0:1], 4, v[14:15]
	v_add_u32_e32 v45, 0x348, v44
	v_add_co_u32_e32 v0, vcc, v57, v0
	v_addc_co_u32_e32 v1, vcc, v96, v1, vcc
	global_store_dwordx4 v[0:1], v[10:13], off
	v_mad_u64_u32 v[51:52], s[4:5], s2, v45, 0
	v_add_u32_e32 v12, 0x70, v120
	v_lshrrev_b32_e32 v10, 3, v12
	v_mul_hi_u32 v13, v10, s0
	v_mov_b32_e32 v14, v52
	v_mad_u64_u32 v[14:15], s[4:5], s3, v45, v[14:15]
	v_lshrrev_b32_e32 v13, 1, v13
	v_mul_lo_u32 v15, v13, s1
	v_mov_b32_e32 v52, v14
	v_add_u32_e32 v14, 0x3f0, v44
	v_mad_u64_u32 v[10:11], s[4:5], s2, v14, 0
	v_sub_u32_e32 v12, v12, v15
	v_mad_u64_u32 v[12:13], s[0:1], v13, s6, v[12:13]
	v_lshlrev_b64 v[0:1], 4, v[51:52]
	v_add_f64 v[40:41], v[118:119], -v[131:132]
	v_mad_u64_u32 v[13:14], s[0:1], s3, v14, v[11:12]
	v_mad_u64_u32 v[14:15], s[0:1], s2, v12, 0
	v_add_co_u32_e32 v0, vcc, v57, v0
	v_addc_co_u32_e32 v1, vcc, v96, v1, vcc
	global_store_dwordx4 v[0:1], v[6:9], off
	v_mov_b32_e32 v11, v13
	v_mov_b32_e32 v6, v15
	v_mad_u64_u32 v[6:7], s[0:1], s3, v12, v[6:7]
	v_add_u32_e32 v8, 0xa8, v12
	v_lshlrev_b64 v[0:1], 4, v[10:11]
	v_mov_b32_e32 v15, v6
	v_mad_u64_u32 v[6:7], s[0:1], s2, v8, 0
	v_add_co_u32_e32 v0, vcc, v57, v0
	v_addc_co_u32_e32 v1, vcc, v96, v1, vcc
	v_mad_u64_u32 v[7:8], s[0:1], s3, v8, v[7:8]
	v_add_u32_e32 v10, 0x150, v12
	global_store_dwordx4 v[0:1], v[40:43], off
	v_lshlrev_b64 v[0:1], 4, v[14:15]
	v_mad_u64_u32 v[8:9], s[0:1], s2, v10, 0
	v_add_co_u32_e32 v0, vcc, v57, v0
	v_addc_co_u32_e32 v1, vcc, v96, v1, vcc
	global_store_dwordx4 v[0:1], v[28:31], off
	v_lshlrev_b64 v[0:1], 4, v[6:7]
	v_mov_b32_e32 v6, v9
	v_mad_u64_u32 v[6:7], s[0:1], s3, v10, v[6:7]
	v_add_co_u32_e32 v0, vcc, v57, v0
	v_addc_co_u32_e32 v1, vcc, v96, v1, vcc
	v_mov_b32_e32 v9, v6
	global_store_dwordx4 v[0:1], v[36:39], off
	v_lshlrev_b64 v[0:1], 4, v[8:9]
	v_add_u32_e32 v8, 0x1f8, v12
	v_mad_u64_u32 v[6:7], s[0:1], s2, v8, 0
	v_add_co_u32_e32 v0, vcc, v57, v0
	v_mad_u64_u32 v[7:8], s[0:1], s3, v8, v[7:8]
	v_addc_co_u32_e32 v1, vcc, v96, v1, vcc
	v_add_u32_e32 v10, 0x2a0, v12
	v_mad_u64_u32 v[8:9], s[0:1], s2, v10, 0
	global_store_dwordx4 v[0:1], v[32:35], off
	v_lshlrev_b64 v[0:1], 4, v[6:7]
	v_mov_b32_e32 v6, v9
	v_add_co_u32_e32 v0, vcc, v57, v0
	v_addc_co_u32_e32 v1, vcc, v96, v1, vcc
	global_store_dwordx4 v[0:1], v[2:5], off
	v_mad_u64_u32 v[6:7], s[0:1], s3, v10, v[6:7]
	v_add_u32_e32 v4, 0x348, v12
	v_mad_u64_u32 v[2:3], s[0:1], s2, v4, 0
	v_mov_b32_e32 v9, v6
	v_add_u32_e32 v6, 0x3f0, v12
	v_mad_u64_u32 v[3:4], s[0:1], s3, v4, v[3:4]
	v_lshlrev_b64 v[0:1], 4, v[8:9]
	v_mad_u64_u32 v[4:5], s[0:1], s2, v6, 0
	v_add_co_u32_e32 v0, vcc, v57, v0
	v_addc_co_u32_e32 v1, vcc, v96, v1, vcc
	global_store_dwordx4 v[0:1], v[24:27], off
	v_lshlrev_b64 v[0:1], 4, v[2:3]
	v_mov_b32_e32 v2, v5
	v_mad_u64_u32 v[2:3], s[0:1], s3, v6, v[2:3]
	v_add_co_u32_e32 v0, vcc, v57, v0
	v_addc_co_u32_e32 v1, vcc, v96, v1, vcc
	v_mov_b32_e32 v5, v2
	global_store_dwordx4 v[0:1], v[20:23], off
	v_lshlrev_b64 v[0:1], 4, v[4:5]
	v_add_co_u32_e32 v0, vcc, v57, v0
	v_addc_co_u32_e32 v1, vcc, v96, v1, vcc
	global_store_dwordx4 v[0:1], v[16:19], off
.LBB0_37:
	s_endpgm
	.section	.rodata,"a",@progbits
	.p2align	6, 0x0
	.amdhsa_kernel fft_rtc_fwd_len1176_factors_2_2_2_3_7_7_wgs_56_tpt_56_halfLds_dp_op_CI_CI_sbrr_dirReg
		.amdhsa_group_segment_fixed_size 0
		.amdhsa_private_segment_fixed_size 0
		.amdhsa_kernarg_size 104
		.amdhsa_user_sgpr_count 6
		.amdhsa_user_sgpr_private_segment_buffer 1
		.amdhsa_user_sgpr_dispatch_ptr 0
		.amdhsa_user_sgpr_queue_ptr 0
		.amdhsa_user_sgpr_kernarg_segment_ptr 1
		.amdhsa_user_sgpr_dispatch_id 0
		.amdhsa_user_sgpr_flat_scratch_init 0
		.amdhsa_user_sgpr_private_segment_size 0
		.amdhsa_uses_dynamic_stack 0
		.amdhsa_system_sgpr_private_segment_wavefront_offset 0
		.amdhsa_system_sgpr_workgroup_id_x 1
		.amdhsa_system_sgpr_workgroup_id_y 0
		.amdhsa_system_sgpr_workgroup_id_z 0
		.amdhsa_system_sgpr_workgroup_info 0
		.amdhsa_system_vgpr_workitem_id 0
		.amdhsa_next_free_vgpr 185
		.amdhsa_next_free_sgpr 32
		.amdhsa_reserve_vcc 1
		.amdhsa_reserve_flat_scratch 0
		.amdhsa_float_round_mode_32 0
		.amdhsa_float_round_mode_16_64 0
		.amdhsa_float_denorm_mode_32 3
		.amdhsa_float_denorm_mode_16_64 3
		.amdhsa_dx10_clamp 1
		.amdhsa_ieee_mode 1
		.amdhsa_fp16_overflow 0
		.amdhsa_exception_fp_ieee_invalid_op 0
		.amdhsa_exception_fp_denorm_src 0
		.amdhsa_exception_fp_ieee_div_zero 0
		.amdhsa_exception_fp_ieee_overflow 0
		.amdhsa_exception_fp_ieee_underflow 0
		.amdhsa_exception_fp_ieee_inexact 0
		.amdhsa_exception_int_div_zero 0
	.end_amdhsa_kernel
	.text
.Lfunc_end0:
	.size	fft_rtc_fwd_len1176_factors_2_2_2_3_7_7_wgs_56_tpt_56_halfLds_dp_op_CI_CI_sbrr_dirReg, .Lfunc_end0-fft_rtc_fwd_len1176_factors_2_2_2_3_7_7_wgs_56_tpt_56_halfLds_dp_op_CI_CI_sbrr_dirReg
                                        ; -- End function
	.section	.AMDGPU.csdata,"",@progbits
; Kernel info:
; codeLenInByte = 16424
; NumSgprs: 36
; NumVgprs: 185
; ScratchSize: 0
; MemoryBound: 1
; FloatMode: 240
; IeeeMode: 1
; LDSByteSize: 0 bytes/workgroup (compile time only)
; SGPRBlocks: 4
; VGPRBlocks: 46
; NumSGPRsForWavesPerEU: 36
; NumVGPRsForWavesPerEU: 185
; Occupancy: 1
; WaveLimiterHint : 1
; COMPUTE_PGM_RSRC2:SCRATCH_EN: 0
; COMPUTE_PGM_RSRC2:USER_SGPR: 6
; COMPUTE_PGM_RSRC2:TRAP_HANDLER: 0
; COMPUTE_PGM_RSRC2:TGID_X_EN: 1
; COMPUTE_PGM_RSRC2:TGID_Y_EN: 0
; COMPUTE_PGM_RSRC2:TGID_Z_EN: 0
; COMPUTE_PGM_RSRC2:TIDIG_COMP_CNT: 0
	.type	__hip_cuid_14583e270baae3a0,@object ; @__hip_cuid_14583e270baae3a0
	.section	.bss,"aw",@nobits
	.globl	__hip_cuid_14583e270baae3a0
__hip_cuid_14583e270baae3a0:
	.byte	0                               ; 0x0
	.size	__hip_cuid_14583e270baae3a0, 1

	.ident	"AMD clang version 19.0.0git (https://github.com/RadeonOpenCompute/llvm-project roc-6.4.0 25133 c7fe45cf4b819c5991fe208aaa96edf142730f1d)"
	.section	".note.GNU-stack","",@progbits
	.addrsig
	.addrsig_sym __hip_cuid_14583e270baae3a0
	.amdgpu_metadata
---
amdhsa.kernels:
  - .args:
      - .actual_access:  read_only
        .address_space:  global
        .offset:         0
        .size:           8
        .value_kind:     global_buffer
      - .offset:         8
        .size:           8
        .value_kind:     by_value
      - .actual_access:  read_only
        .address_space:  global
        .offset:         16
        .size:           8
        .value_kind:     global_buffer
      - .actual_access:  read_only
        .address_space:  global
        .offset:         24
        .size:           8
        .value_kind:     global_buffer
      - .actual_access:  read_only
        .address_space:  global
        .offset:         32
        .size:           8
        .value_kind:     global_buffer
      - .offset:         40
        .size:           8
        .value_kind:     by_value
      - .actual_access:  read_only
        .address_space:  global
        .offset:         48
        .size:           8
        .value_kind:     global_buffer
      - .actual_access:  read_only
        .address_space:  global
        .offset:         56
        .size:           8
        .value_kind:     global_buffer
      - .offset:         64
        .size:           4
        .value_kind:     by_value
      - .actual_access:  read_only
        .address_space:  global
        .offset:         72
        .size:           8
        .value_kind:     global_buffer
      - .actual_access:  read_only
        .address_space:  global
        .offset:         80
        .size:           8
        .value_kind:     global_buffer
      - .actual_access:  read_only
        .address_space:  global
        .offset:         88
        .size:           8
        .value_kind:     global_buffer
      - .actual_access:  write_only
        .address_space:  global
        .offset:         96
        .size:           8
        .value_kind:     global_buffer
    .group_segment_fixed_size: 0
    .kernarg_segment_align: 8
    .kernarg_segment_size: 104
    .language:       OpenCL C
    .language_version:
      - 2
      - 0
    .max_flat_workgroup_size: 56
    .name:           fft_rtc_fwd_len1176_factors_2_2_2_3_7_7_wgs_56_tpt_56_halfLds_dp_op_CI_CI_sbrr_dirReg
    .private_segment_fixed_size: 0
    .sgpr_count:     36
    .sgpr_spill_count: 0
    .symbol:         fft_rtc_fwd_len1176_factors_2_2_2_3_7_7_wgs_56_tpt_56_halfLds_dp_op_CI_CI_sbrr_dirReg.kd
    .uniform_work_group_size: 1
    .uses_dynamic_stack: false
    .vgpr_count:     185
    .vgpr_spill_count: 0
    .wavefront_size: 64
amdhsa.target:   amdgcn-amd-amdhsa--gfx906
amdhsa.version:
  - 1
  - 2
...

	.end_amdgpu_metadata
